;; amdgpu-corpus repo=ROCm/rocFFT kind=compiled arch=gfx906 opt=O3
	.text
	.amdgcn_target "amdgcn-amd-amdhsa--gfx906"
	.amdhsa_code_object_version 6
	.protected	fft_rtc_back_len2250_factors_10_3_5_3_5_wgs_90_tpt_90_halfLds_dp_ip_CI_unitstride_sbrr_dirReg ; -- Begin function fft_rtc_back_len2250_factors_10_3_5_3_5_wgs_90_tpt_90_halfLds_dp_ip_CI_unitstride_sbrr_dirReg
	.globl	fft_rtc_back_len2250_factors_10_3_5_3_5_wgs_90_tpt_90_halfLds_dp_ip_CI_unitstride_sbrr_dirReg
	.p2align	8
	.type	fft_rtc_back_len2250_factors_10_3_5_3_5_wgs_90_tpt_90_halfLds_dp_ip_CI_unitstride_sbrr_dirReg,@function
fft_rtc_back_len2250_factors_10_3_5_3_5_wgs_90_tpt_90_halfLds_dp_ip_CI_unitstride_sbrr_dirReg: ; @fft_rtc_back_len2250_factors_10_3_5_3_5_wgs_90_tpt_90_halfLds_dp_ip_CI_unitstride_sbrr_dirReg
; %bb.0:
	s_load_dwordx2 s[12:13], s[4:5], 0x50
	s_load_dwordx4 s[8:11], s[4:5], 0x0
	s_load_dwordx2 s[2:3], s[4:5], 0x18
	v_mul_u32_u24_e32 v1, 0x2d9, v0
	v_add_u32_sdwa v5, s6, v1 dst_sel:DWORD dst_unused:UNUSED_PAD src0_sel:DWORD src1_sel:WORD_1
	v_mov_b32_e32 v3, 0
	s_waitcnt lgkmcnt(0)
	v_cmp_lt_u64_e64 s[0:1], s[10:11], 2
	v_mov_b32_e32 v1, 0
	v_mov_b32_e32 v6, v3
	s_and_b64 vcc, exec, s[0:1]
	v_mov_b32_e32 v2, 0
	s_cbranch_vccnz .LBB0_8
; %bb.1:
	s_load_dwordx2 s[0:1], s[4:5], 0x10
	s_add_u32 s6, s2, 8
	s_addc_u32 s7, s3, 0
	v_mov_b32_e32 v1, 0
	v_mov_b32_e32 v2, 0
	s_waitcnt lgkmcnt(0)
	s_add_u32 s14, s0, 8
	s_addc_u32 s15, s1, 0
	s_mov_b64 s[16:17], 1
.LBB0_2:                                ; =>This Inner Loop Header: Depth=1
	s_load_dwordx2 s[18:19], s[14:15], 0x0
                                        ; implicit-def: $vgpr7_vgpr8
	s_waitcnt lgkmcnt(0)
	v_or_b32_e32 v4, s19, v6
	v_cmp_ne_u64_e32 vcc, 0, v[3:4]
	s_and_saveexec_b64 s[0:1], vcc
	s_xor_b64 s[20:21], exec, s[0:1]
	s_cbranch_execz .LBB0_4
; %bb.3:                                ;   in Loop: Header=BB0_2 Depth=1
	v_cvt_f32_u32_e32 v4, s18
	v_cvt_f32_u32_e32 v7, s19
	s_sub_u32 s0, 0, s18
	s_subb_u32 s1, 0, s19
	v_mac_f32_e32 v4, 0x4f800000, v7
	v_rcp_f32_e32 v4, v4
	v_mul_f32_e32 v4, 0x5f7ffffc, v4
	v_mul_f32_e32 v7, 0x2f800000, v4
	v_trunc_f32_e32 v7, v7
	v_mac_f32_e32 v4, 0xcf800000, v7
	v_cvt_u32_f32_e32 v7, v7
	v_cvt_u32_f32_e32 v4, v4
	v_mul_lo_u32 v8, s0, v7
	v_mul_hi_u32 v9, s0, v4
	v_mul_lo_u32 v11, s1, v4
	v_mul_lo_u32 v10, s0, v4
	v_add_u32_e32 v8, v9, v8
	v_add_u32_e32 v8, v8, v11
	v_mul_hi_u32 v9, v4, v10
	v_mul_lo_u32 v11, v4, v8
	v_mul_hi_u32 v13, v4, v8
	v_mul_hi_u32 v12, v7, v10
	v_mul_lo_u32 v10, v7, v10
	v_mul_hi_u32 v14, v7, v8
	v_add_co_u32_e32 v9, vcc, v9, v11
	v_addc_co_u32_e32 v11, vcc, 0, v13, vcc
	v_mul_lo_u32 v8, v7, v8
	v_add_co_u32_e32 v9, vcc, v9, v10
	v_addc_co_u32_e32 v9, vcc, v11, v12, vcc
	v_addc_co_u32_e32 v10, vcc, 0, v14, vcc
	v_add_co_u32_e32 v8, vcc, v9, v8
	v_addc_co_u32_e32 v9, vcc, 0, v10, vcc
	v_add_co_u32_e32 v4, vcc, v4, v8
	v_addc_co_u32_e32 v7, vcc, v7, v9, vcc
	v_mul_lo_u32 v8, s0, v7
	v_mul_hi_u32 v9, s0, v4
	v_mul_lo_u32 v10, s1, v4
	v_mul_lo_u32 v11, s0, v4
	v_add_u32_e32 v8, v9, v8
	v_add_u32_e32 v8, v8, v10
	v_mul_lo_u32 v12, v4, v8
	v_mul_hi_u32 v13, v4, v11
	v_mul_hi_u32 v14, v4, v8
	;; [unrolled: 1-line block ×3, first 2 shown]
	v_mul_lo_u32 v11, v7, v11
	v_mul_hi_u32 v9, v7, v8
	v_add_co_u32_e32 v12, vcc, v13, v12
	v_addc_co_u32_e32 v13, vcc, 0, v14, vcc
	v_mul_lo_u32 v8, v7, v8
	v_add_co_u32_e32 v11, vcc, v12, v11
	v_addc_co_u32_e32 v10, vcc, v13, v10, vcc
	v_addc_co_u32_e32 v9, vcc, 0, v9, vcc
	v_add_co_u32_e32 v8, vcc, v10, v8
	v_addc_co_u32_e32 v9, vcc, 0, v9, vcc
	v_add_co_u32_e32 v4, vcc, v4, v8
	v_addc_co_u32_e32 v9, vcc, v7, v9, vcc
	v_mad_u64_u32 v[7:8], s[0:1], v5, v9, 0
	v_mul_hi_u32 v10, v5, v4
	v_add_co_u32_e32 v11, vcc, v10, v7
	v_addc_co_u32_e32 v12, vcc, 0, v8, vcc
	v_mad_u64_u32 v[7:8], s[0:1], v6, v4, 0
	v_mad_u64_u32 v[9:10], s[0:1], v6, v9, 0
	v_add_co_u32_e32 v4, vcc, v11, v7
	v_addc_co_u32_e32 v4, vcc, v12, v8, vcc
	v_addc_co_u32_e32 v7, vcc, 0, v10, vcc
	v_add_co_u32_e32 v4, vcc, v4, v9
	v_addc_co_u32_e32 v9, vcc, 0, v7, vcc
	v_mul_lo_u32 v10, s19, v4
	v_mul_lo_u32 v11, s18, v9
	v_mad_u64_u32 v[7:8], s[0:1], s18, v4, 0
	v_add3_u32 v8, v8, v11, v10
	v_sub_u32_e32 v10, v6, v8
	v_mov_b32_e32 v11, s19
	v_sub_co_u32_e32 v7, vcc, v5, v7
	v_subb_co_u32_e64 v10, s[0:1], v10, v11, vcc
	v_subrev_co_u32_e64 v11, s[0:1], s18, v7
	v_subbrev_co_u32_e64 v10, s[0:1], 0, v10, s[0:1]
	v_cmp_le_u32_e64 s[0:1], s19, v10
	v_cndmask_b32_e64 v12, 0, -1, s[0:1]
	v_cmp_le_u32_e64 s[0:1], s18, v11
	v_cndmask_b32_e64 v11, 0, -1, s[0:1]
	v_cmp_eq_u32_e64 s[0:1], s19, v10
	v_cndmask_b32_e64 v10, v12, v11, s[0:1]
	v_add_co_u32_e64 v11, s[0:1], 2, v4
	v_addc_co_u32_e64 v12, s[0:1], 0, v9, s[0:1]
	v_add_co_u32_e64 v13, s[0:1], 1, v4
	v_addc_co_u32_e64 v14, s[0:1], 0, v9, s[0:1]
	v_subb_co_u32_e32 v8, vcc, v6, v8, vcc
	v_cmp_ne_u32_e64 s[0:1], 0, v10
	v_cmp_le_u32_e32 vcc, s19, v8
	v_cndmask_b32_e64 v10, v14, v12, s[0:1]
	v_cndmask_b32_e64 v12, 0, -1, vcc
	v_cmp_le_u32_e32 vcc, s18, v7
	v_cndmask_b32_e64 v7, 0, -1, vcc
	v_cmp_eq_u32_e32 vcc, s19, v8
	v_cndmask_b32_e32 v7, v12, v7, vcc
	v_cmp_ne_u32_e32 vcc, 0, v7
	v_cndmask_b32_e64 v7, v13, v11, s[0:1]
	v_cndmask_b32_e32 v8, v9, v10, vcc
	v_cndmask_b32_e32 v7, v4, v7, vcc
.LBB0_4:                                ;   in Loop: Header=BB0_2 Depth=1
	s_andn2_saveexec_b64 s[0:1], s[20:21]
	s_cbranch_execz .LBB0_6
; %bb.5:                                ;   in Loop: Header=BB0_2 Depth=1
	v_cvt_f32_u32_e32 v4, s18
	s_sub_i32 s20, 0, s18
	v_rcp_iflag_f32_e32 v4, v4
	v_mul_f32_e32 v4, 0x4f7ffffe, v4
	v_cvt_u32_f32_e32 v4, v4
	v_mul_lo_u32 v7, s20, v4
	v_mul_hi_u32 v7, v4, v7
	v_add_u32_e32 v4, v4, v7
	v_mul_hi_u32 v4, v5, v4
	v_mul_lo_u32 v7, v4, s18
	v_add_u32_e32 v8, 1, v4
	v_sub_u32_e32 v7, v5, v7
	v_subrev_u32_e32 v9, s18, v7
	v_cmp_le_u32_e32 vcc, s18, v7
	v_cndmask_b32_e32 v7, v7, v9, vcc
	v_cndmask_b32_e32 v4, v4, v8, vcc
	v_add_u32_e32 v8, 1, v4
	v_cmp_le_u32_e32 vcc, s18, v7
	v_cndmask_b32_e32 v7, v4, v8, vcc
	v_mov_b32_e32 v8, v3
.LBB0_6:                                ;   in Loop: Header=BB0_2 Depth=1
	s_or_b64 exec, exec, s[0:1]
	v_mul_lo_u32 v4, v8, s18
	v_mul_lo_u32 v11, v7, s19
	v_mad_u64_u32 v[9:10], s[0:1], v7, s18, 0
	s_load_dwordx2 s[0:1], s[6:7], 0x0
	s_add_u32 s16, s16, 1
	v_add3_u32 v4, v10, v11, v4
	v_sub_co_u32_e32 v5, vcc, v5, v9
	v_subb_co_u32_e32 v4, vcc, v6, v4, vcc
	s_waitcnt lgkmcnt(0)
	v_mul_lo_u32 v4, s0, v4
	v_mul_lo_u32 v6, s1, v5
	v_mad_u64_u32 v[1:2], s[0:1], s0, v5, v[1:2]
	s_addc_u32 s17, s17, 0
	s_add_u32 s6, s6, 8
	v_add3_u32 v2, v6, v2, v4
	v_mov_b32_e32 v4, s10
	v_mov_b32_e32 v5, s11
	s_addc_u32 s7, s7, 0
	v_cmp_ge_u64_e32 vcc, s[16:17], v[4:5]
	s_add_u32 s14, s14, 8
	s_addc_u32 s15, s15, 0
	s_cbranch_vccnz .LBB0_9
; %bb.7:                                ;   in Loop: Header=BB0_2 Depth=1
	v_mov_b32_e32 v5, v7
	v_mov_b32_e32 v6, v8
	s_branch .LBB0_2
.LBB0_8:
	v_mov_b32_e32 v8, v6
	v_mov_b32_e32 v7, v5
.LBB0_9:
	s_lshl_b64 s[0:1], s[10:11], 3
	s_add_u32 s0, s2, s0
	s_addc_u32 s1, s3, s1
	s_load_dwordx2 s[2:3], s[0:1], 0x0
	s_load_dwordx2 s[6:7], s[4:5], 0x20
                                        ; implicit-def: $vgpr78_vgpr79
                                        ; implicit-def: $vgpr18_vgpr19
                                        ; implicit-def: $vgpr66_vgpr67
                                        ; implicit-def: $vgpr34_vgpr35
                                        ; implicit-def: $vgpr62_vgpr63
                                        ; implicit-def: $vgpr50_vgpr51
                                        ; implicit-def: $vgpr74_vgpr75
                                        ; implicit-def: $vgpr10_vgpr11
                                        ; implicit-def: $vgpr14_vgpr15
                                        ; implicit-def: $vgpr58_vgpr59
                                        ; implicit-def: $vgpr54_vgpr55
                                        ; implicit-def: $vgpr46_vgpr47
                                        ; implicit-def: $vgpr42_vgpr43
                                        ; implicit-def: $vgpr30_vgpr31
                                        ; implicit-def: $vgpr38_vgpr39
                                        ; implicit-def: $vgpr22_vgpr23
                                        ; implicit-def: $vgpr26_vgpr27
                                        ; implicit-def: $vgpr70_vgpr71
                                        ; implicit-def: $vgpr86_vgpr87
                                        ; implicit-def: $vgpr114_vgpr115
                                        ; implicit-def: $vgpr110_vgpr111
                                        ; implicit-def: $vgpr102_vgpr103
                                        ; implicit-def: $vgpr90_vgpr91
                                        ; implicit-def: $vgpr106_vgpr107
                                        ; implicit-def: $vgpr94_vgpr95
                                        ; implicit-def: $vgpr98_vgpr99
                                        ; implicit-def: $vgpr82_vgpr83
                                        ; implicit-def: $vgpr118_vgpr119
	s_waitcnt lgkmcnt(0)
	v_mad_u64_u32 v[1:2], s[0:1], s2, v7, v[1:2]
	v_mul_lo_u32 v3, s2, v8
	v_mul_lo_u32 v4, s3, v7
	s_mov_b32 s0, 0x2d82d83
	v_mul_hi_u32 v5, v0, s0
	v_cmp_gt_u64_e64 s[0:1], s[6:7], v[7:8]
	v_add3_u32 v2, v4, v2, v3
	v_lshlrev_b64 v[176:177], 4, v[1:2]
	v_mul_u32_u24_e32 v3, 0x5a, v5
	v_sub_u32_e32 v174, v0, v3
                                        ; implicit-def: $vgpr6_vgpr7
                                        ; implicit-def: $vgpr2_vgpr3
	s_and_saveexec_b64 s[2:3], s[0:1]
	s_cbranch_execz .LBB0_13
; %bb.10:
	v_mov_b32_e32 v175, 0
	v_mov_b32_e32 v0, s13
	v_add_co_u32_e32 v2, vcc, s12, v176
	v_addc_co_u32_e32 v3, vcc, v0, v177, vcc
	v_lshlrev_b64 v[0:1], 4, v[174:175]
	s_movk_i32 s4, 0x1000
	v_add_co_u32_e32 v34, vcc, v2, v0
	v_addc_co_u32_e32 v35, vcc, v3, v1, vcc
	v_add_co_u32_e32 v0, vcc, s4, v34
	v_addc_co_u32_e32 v1, vcc, 0, v35, vcc
	s_movk_i32 s4, 0x2000
	v_add_co_u32_e32 v2, vcc, s4, v34
	v_addc_co_u32_e32 v3, vcc, 0, v35, vcc
	s_movk_i32 s4, 0x3000
	;; [unrolled: 3-line block ×6, first 2 shown]
	v_add_co_u32_e32 v120, vcc, s4, v34
	global_load_dwordx4 v[80:83], v[34:35], off offset:3600
	global_load_dwordx4 v[24:27], v[0:1], off offset:944
	;; [unrolled: 1-line block ×12, first 2 shown]
	v_addc_co_u32_e32 v121, vcc, 0, v35, vcc
	v_add_co_u32_e32 v0, vcc, 0x8000, v34
	v_addc_co_u32_e32 v1, vcc, 0, v35, vcc
	global_load_dwordx4 v[12:15], v[0:1], off offset:1072
	global_load_dwordx4 v[84:87], v[120:121], off offset:3728
	global_load_dwordx4 v[116:119], v[34:35], off
	global_load_dwordx4 v[68:71], v[34:35], off offset:1440
	global_load_dwordx4 v[108:111], v[78:79], off offset:624
	;; [unrolled: 1-line block ×5, first 2 shown]
	v_cmp_gt_u32_e32 vcc, 45, v174
                                        ; implicit-def: $vgpr8_vgpr9
                                        ; implicit-def: $vgpr72_vgpr73
                                        ; implicit-def: $vgpr0_vgpr1
                                        ; implicit-def: $vgpr48_vgpr49
                                        ; implicit-def: $vgpr4_vgpr5
                                        ; implicit-def: $vgpr60_vgpr61
                                        ; implicit-def: $vgpr32_vgpr33
                                        ; implicit-def: $vgpr64_vgpr65
                                        ; implicit-def: $vgpr16_vgpr17
                                        ; implicit-def: $vgpr76_vgpr77
	s_and_saveexec_b64 s[4:5], vcc
	s_cbranch_execz .LBB0_12
; %bb.11:
	v_add_co_u32_e32 v32, vcc, 0x1000, v34
	v_addc_co_u32_e32 v33, vcc, 0, v35, vcc
	v_add_co_u32_e32 v4, vcc, 0x2000, v34
	v_addc_co_u32_e32 v5, vcc, 0, v35, vcc
	v_add_co_u32_e32 v6, vcc, 0x3000, v34
	v_addc_co_u32_e32 v7, vcc, 0, v35, vcc
	v_add_co_u32_e32 v76, vcc, 0x4000, v34
	v_addc_co_u32_e32 v77, vcc, 0, v35, vcc
	v_add_co_u32_e32 v122, vcc, 0x5000, v34
	global_load_dwordx4 v[0:3], v[4:5], off offset:1888
	global_load_dwordx4 v[48:51], v[6:7], off offset:1392
	v_addc_co_u32_e32 v123, vcc, 0, v35, vcc
	global_load_dwordx4 v[4:7], v[76:77], off offset:896
	global_load_dwordx4 v[60:63], v[122:123], off offset:400
	;; [unrolled: 1-line block ×6, first 2 shown]
	v_add_co_u32_e32 v120, vcc, 0x8000, v34
	v_addc_co_u32_e32 v121, vcc, 0, v35, vcc
	global_load_dwordx4 v[32:35], v[122:123], off offset:4000
	global_load_dwordx4 v[76:79], v[120:121], off offset:2512
.LBB0_12:
	s_or_b64 exec, exec, s[4:5]
.LBB0_13:
	s_or_b64 exec, exec, s[2:3]
	s_waitcnt vmcnt(9)
	v_add_f64 v[120:121], v[100:101], v[104:105]
	s_waitcnt vmcnt(1)
	v_add_f64 v[122:123], v[112:113], v[96:97]
	v_add_f64 v[124:125], v[96:97], -v[104:105]
	v_add_f64 v[126:127], v[112:113], -v[100:101]
	;; [unrolled: 1-line block ×6, first 2 shown]
	v_fma_f64 v[120:121], v[120:121], -0.5, v[116:117]
	v_fma_f64 v[122:123], v[122:123], -0.5, v[116:117]
	s_mov_b32 s4, 0x134454ff
	s_mov_b32 s5, 0xbfee6f0e
	s_mov_b32 s7, 0x3fee6f0e
	s_mov_b32 s6, s4
	v_add_f64 v[124:125], v[126:127], v[124:125]
	v_add_f64 v[126:127], v[130:131], v[128:129]
	v_fma_f64 v[128:129], v[132:133], s[4:5], v[120:121]
	v_fma_f64 v[120:121], v[132:133], s[6:7], v[120:121]
	;; [unrolled: 1-line block ×4, first 2 shown]
	v_add_f64 v[136:137], v[108:109], v[88:89]
	s_mov_b32 s10, 0x4755a5e
	s_mov_b32 s11, 0xbfe2cf23
	;; [unrolled: 1-line block ×4, first 2 shown]
	v_fma_f64 v[128:129], v[134:135], s[10:11], v[128:129]
	v_fma_f64 v[120:121], v[134:135], s[14:15], v[120:121]
	;; [unrolled: 1-line block ×4, first 2 shown]
	v_fma_f64 v[132:133], v[136:137], -0.5, v[80:81]
	v_add_f64 v[134:135], v[94:95], -v[86:87]
	v_add_f64 v[136:137], v[92:93], -v[88:89]
	v_add_f64 v[138:139], v[84:85], v[92:93]
	v_add_f64 v[140:141], v[84:85], -v[108:109]
	s_mov_b32 s16, 0x372fe950
	s_mov_b32 s17, 0x3fd3c6ef
	v_fma_f64 v[128:129], v[124:125], s[16:17], v[128:129]
	v_fma_f64 v[124:125], v[124:125], s[16:17], v[120:121]
	;; [unrolled: 1-line block ×5, first 2 shown]
	v_add_f64 v[122:123], v[90:91], -v[110:111]
	v_fma_f64 v[138:139], v[138:139], -0.5, v[80:81]
	v_add_f64 v[136:137], v[140:141], v[136:137]
	v_fma_f64 v[132:133], v[134:135], s[6:7], v[132:133]
	v_add_f64 v[140:141], v[110:111], v[90:91]
	v_add_f64 v[142:143], v[88:89], -v[92:93]
	v_add_f64 v[144:145], v[108:109], -v[84:85]
	v_add_f64 v[146:147], v[86:87], v[94:95]
	v_fma_f64 v[120:121], v[122:123], s[10:11], v[120:121]
	v_fma_f64 v[148:149], v[122:123], s[6:7], v[138:139]
	;; [unrolled: 1-line block ×4, first 2 shown]
	v_fma_f64 v[132:133], v[140:141], -0.5, v[82:83]
	v_add_f64 v[140:141], v[92:93], -v[84:85]
	v_add_f64 v[142:143], v[144:145], v[142:143]
	v_fma_f64 v[144:145], v[146:147], -0.5, v[82:83]
	v_add_f64 v[146:147], v[88:89], -v[108:109]
	v_fma_f64 v[148:149], v[134:135], s[10:11], v[148:149]
	v_fma_f64 v[134:135], v[134:135], s[14:15], v[138:139]
	v_add_f64 v[138:139], v[94:95], -v[90:91]
	v_add_f64 v[150:151], v[86:87], -v[110:111]
	v_fma_f64 v[152:153], v[140:141], s[6:7], v[132:133]
	v_add_f64 v[154:155], v[90:91], -v[94:95]
	v_add_f64 v[156:157], v[110:111], -v[86:87]
	v_fma_f64 v[158:159], v[146:147], s[4:5], v[144:145]
	v_add_f64 v[116:117], v[96:97], v[116:117]
	v_add_f64 v[80:81], v[92:93], v[80:81]
	v_fma_f64 v[92:93], v[146:147], s[6:7], v[144:145]
	v_fma_f64 v[132:133], v[140:141], s[4:5], v[132:133]
	v_add_f64 v[138:139], v[150:151], v[138:139]
	v_fma_f64 v[144:145], v[146:147], s[14:15], v[152:153]
	v_add_f64 v[150:151], v[156:157], v[154:155]
	;; [unrolled: 2-line block ×3, first 2 shown]
	v_add_f64 v[88:89], v[88:89], v[80:81]
	v_fma_f64 v[140:141], v[140:141], s[10:11], v[92:93]
	v_fma_f64 v[132:133], v[146:147], s[10:11], v[132:133]
	;; [unrolled: 1-line block ×5, first 2 shown]
	s_mov_b32 s2, 0x9b97f4a8
	v_add_f64 v[120:121], v[100:101], v[154:155]
	v_add_f64 v[122:123], v[108:109], v[88:89]
	v_fma_f64 v[108:109], v[150:151], s[16:17], v[140:141]
	v_fma_f64 v[88:89], v[142:143], s[16:17], v[134:135]
	;; [unrolled: 1-line block ×3, first 2 shown]
	v_mul_f64 v[134:135], v[92:93], s[10:11]
	s_mov_b32 s3, 0x3fe9e377
	v_fma_f64 v[116:117], v[150:151], s[16:17], v[152:153]
	v_add_f64 v[136:137], v[112:113], v[120:121]
	v_add_f64 v[84:85], v[84:85], v[122:123]
	v_mul_f64 v[120:121], v[108:109], s[4:5]
	v_add_f64 v[138:139], v[44:45], v[28:29]
	v_mul_f64 v[122:123], v[178:179], s[10:11]
	v_fma_f64 v[134:135], v[182:183], s[2:3], v[134:135]
	s_mov_b32 s19, 0xbfd3c6ef
	s_mov_b32 s18, s16
	;; [unrolled: 1-line block ×4, first 2 shown]
	v_fma_f64 v[180:181], v[142:143], s[16:17], v[148:149]
	v_mul_f64 v[132:133], v[116:117], s[4:5]
	v_fma_f64 v[144:145], v[88:89], s[18:19], v[120:121]
	v_fma_f64 v[146:147], v[80:81], s[20:21], v[122:123]
	v_add_f64 v[120:121], v[84:85], v[136:137]
	v_add_f64 v[122:123], v[128:129], v[134:135]
	v_add_f64 v[140:141], v[128:129], -v[134:135]
	v_fma_f64 v[128:129], v[138:139], -0.5, v[68:69]
	s_waitcnt vmcnt(0)
	v_add_f64 v[138:139], v[22:23], -v[58:59]
	v_add_f64 v[136:137], v[136:137], -v[84:85]
	v_add_f64 v[84:85], v[56:57], v[20:21]
	v_fma_f64 v[132:133], v[180:181], s[16:17], v[132:133]
	v_add_f64 v[148:149], v[20:21], -v[28:29]
	v_add_f64 v[150:151], v[56:57], -v[44:45]
	;; [unrolled: 1-line block ×3, first 2 shown]
	v_add_f64 v[134:135], v[124:125], v[146:147]
	v_fma_f64 v[152:153], v[138:139], s[4:5], v[128:129]
	v_fma_f64 v[128:129], v[138:139], s[6:7], v[128:129]
	v_fma_f64 v[84:85], v[84:85], -0.5, v[68:69]
	v_add_f64 v[146:147], v[124:125], -v[146:147]
	v_add_f64 v[124:125], v[52:53], v[40:41]
	v_add_f64 v[142:143], v[130:131], -v[132:133]
	v_add_f64 v[130:131], v[130:131], v[132:133]
	v_add_f64 v[132:133], v[126:127], v[144:145]
	v_add_f64 v[144:145], v[126:127], -v[144:145]
	v_add_f64 v[126:127], v[150:151], v[148:149]
	v_fma_f64 v[148:149], v[154:155], s[10:11], v[152:153]
	v_fma_f64 v[128:129], v[154:155], s[14:15], v[128:129]
	v_add_f64 v[150:151], v[28:29], -v[20:21]
	v_add_f64 v[152:153], v[44:45], -v[56:57]
	v_fma_f64 v[156:157], v[154:155], s[6:7], v[84:85]
	v_fma_f64 v[84:85], v[154:155], s[4:5], v[84:85]
	v_fma_f64 v[124:125], v[124:125], -0.5, v[24:25]
	v_add_f64 v[154:155], v[38:39], -v[14:15]
	v_add_f64 v[158:159], v[36:37], -v[40:41]
	v_add_f64 v[160:161], v[12:13], v[36:37]
	v_add_f64 v[162:163], v[12:13], -v[52:53]
	v_add_f64 v[150:151], v[152:153], v[150:151]
	v_fma_f64 v[152:153], v[138:139], s[10:11], v[156:157]
	v_fma_f64 v[138:139], v[138:139], s[14:15], v[84:85]
	;; [unrolled: 1-line block ×4, first 2 shown]
	v_add_f64 v[148:149], v[42:43], -v[54:55]
	v_fma_f64 v[160:161], v[160:161], -0.5, v[24:25]
	v_add_f64 v[158:159], v[162:163], v[158:159]
	v_fma_f64 v[124:125], v[154:155], s[6:7], v[124:125]
	v_add_f64 v[162:163], v[54:55], v[42:43]
	v_add_f64 v[164:165], v[40:41], -v[36:37]
	v_add_f64 v[166:167], v[52:53], -v[12:13]
	v_add_f64 v[168:169], v[14:15], v[38:39]
	v_fma_f64 v[84:85], v[148:149], s[10:11], v[84:85]
	v_fma_f64 v[170:171], v[148:149], s[6:7], v[160:161]
	;; [unrolled: 1-line block ×4, first 2 shown]
	v_fma_f64 v[148:149], v[162:163], -0.5, v[26:27]
	v_add_f64 v[162:163], v[36:37], -v[12:13]
	v_add_f64 v[164:165], v[166:167], v[164:165]
	v_fma_f64 v[166:167], v[168:169], -0.5, v[26:27]
	v_add_f64 v[168:169], v[40:41], -v[52:53]
	v_fma_f64 v[170:171], v[154:155], s[10:11], v[170:171]
	v_fma_f64 v[154:155], v[154:155], s[14:15], v[160:161]
	v_add_f64 v[160:161], v[38:39], -v[42:43]
	v_add_f64 v[172:173], v[14:15], -v[54:55]
	v_fma_f64 v[184:185], v[162:163], s[6:7], v[148:149]
	v_add_f64 v[186:187], v[42:43], -v[38:39]
	v_add_f64 v[188:189], v[54:55], -v[14:15]
	v_fma_f64 v[190:191], v[168:169], s[4:5], v[166:167]
	v_add_f64 v[68:69], v[20:21], v[68:69]
	v_fma_f64 v[166:167], v[168:169], s[6:7], v[166:167]
	v_fma_f64 v[148:149], v[162:163], s[4:5], v[148:149]
	v_add_f64 v[24:25], v[36:37], v[24:25]
	v_add_f64 v[36:37], v[172:173], v[160:161]
	v_fma_f64 v[160:161], v[168:169], s[14:15], v[184:185]
	v_add_f64 v[172:173], v[188:189], v[186:187]
	v_fma_f64 v[188:189], v[162:163], s[14:15], v[190:191]
	;; [unrolled: 2-line block ×3, first 2 shown]
	v_fma_f64 v[148:149], v[168:169], s[10:11], v[148:149]
	v_add_f64 v[166:167], v[40:41], v[24:25]
	v_fma_f64 v[186:187], v[158:159], s[16:17], v[84:85]
	v_fma_f64 v[184:185], v[36:37], s[16:17], v[160:161]
	;; [unrolled: 1-line block ×4, first 2 shown]
	v_add_f64 v[124:125], v[44:45], v[68:69]
	v_fma_f64 v[84:85], v[172:173], s[16:17], v[162:163]
	v_fma_f64 v[68:69], v[36:37], s[16:17], v[148:149]
	v_add_f64 v[148:149], v[52:53], v[166:167]
	v_fma_f64 v[52:53], v[164:165], s[16:17], v[170:171]
	v_mul_f64 v[158:159], v[184:185], s[10:11]
	v_fma_f64 v[36:37], v[164:165], s[16:17], v[154:155]
	v_mul_f64 v[154:155], v[40:41], s[4:5]
	v_add_f64 v[124:125], v[56:57], v[124:125]
	v_mul_f64 v[160:161], v[84:85], s[4:5]
	v_mul_f64 v[162:163], v[68:69], s[10:11]
	v_add_f64 v[12:13], v[12:13], v[148:149]
	v_fma_f64 v[128:129], v[126:127], s[16:17], v[128:129]
	v_fma_f64 v[126:127], v[186:187], s[2:3], v[158:159]
	v_add_f64 v[170:171], v[32:33], v[4:5]
	v_fma_f64 v[158:159], v[150:151], s[16:17], v[152:153]
	v_fma_f64 v[164:165], v[52:53], s[16:17], v[154:155]
	;; [unrolled: 1-line block ×5, first 2 shown]
	v_add_f64 v[148:149], v[12:13], v[124:125]
	v_add_f64 v[150:151], v[156:157], v[126:127]
	v_add_f64 v[152:153], v[156:157], -v[126:127]
	v_add_f64 v[162:163], v[124:125], -v[12:13]
	v_fma_f64 v[12:13], v[170:171], -0.5, v[8:9]
	v_add_f64 v[126:127], v[2:3], -v[18:19]
	v_mul_u32_u24_e32 v124, 10, v174
	v_add_f64 v[154:155], v[158:159], -v[164:165]
	v_add_f64 v[156:157], v[158:159], v[164:165]
	v_add_f64 v[158:159], v[138:139], v[166:167]
	;; [unrolled: 1-line block ×3, first 2 shown]
	v_add_f64 v[164:165], v[138:139], -v[166:167]
	v_add_f64 v[166:167], v[128:129], -v[168:169]
	v_lshl_add_u32 v194, v124, 3, 0
	v_add_f64 v[124:125], v[0:1], -v[4:5]
	v_add_f64 v[138:139], v[64:65], v[60:61]
	v_add_f64 v[168:169], v[16:17], -v[32:33]
	v_fma_f64 v[170:171], v[126:127], s[4:5], v[12:13]
	v_add_f64 v[128:129], v[6:7], -v[34:35]
	v_fma_f64 v[12:13], v[126:127], s[6:7], v[12:13]
	ds_write_b128 v194, v[120:123]
	ds_write_b128 v194, v[130:133] offset:16
	ds_write_b128 v194, v[134:137] offset:32
	v_add_f64 v[122:123], v[50:51], -v[78:79]
	v_fma_f64 v[120:121], v[138:139], -0.5, v[72:73]
	v_add_f64 v[124:125], v[168:169], v[124:125]
	v_add_f64 v[132:133], v[76:77], v[48:49]
	v_fma_f64 v[130:131], v[128:129], s[10:11], v[170:171]
	v_fma_f64 v[12:13], v[128:129], s[14:15], v[12:13]
	v_add_f64 v[136:137], v[66:67], v[62:63]
	v_add_f64 v[170:171], v[62:63], -v[66:67]
	v_add_f64 v[134:135], v[48:49], -v[60:61]
	v_fma_f64 v[168:169], v[122:123], s[4:5], v[120:121]
	v_add_f64 v[138:139], v[76:77], -v[64:65]
	v_fma_f64 v[172:173], v[132:133], -0.5, v[72:73]
	v_fma_f64 v[130:131], v[124:125], s[16:17], v[130:131]
	v_fma_f64 v[132:133], v[124:125], s[16:17], v[12:13]
	v_fma_f64 v[12:13], v[136:137], -0.5, v[74:75]
	v_add_f64 v[124:125], v[48:49], -v[76:77]
	v_fma_f64 v[120:121], v[122:123], s[6:7], v[120:121]
	v_fma_f64 v[136:137], v[170:171], s[10:11], v[168:169]
	v_add_f64 v[168:169], v[50:51], -v[62:63]
	v_add_f64 v[188:189], v[78:79], v[50:51]
	v_add_f64 v[190:191], v[78:79], -v[66:67]
	v_add_f64 v[195:196], v[60:61], -v[64:65]
	v_add_f64 v[134:135], v[138:139], v[134:135]
	v_fma_f64 v[192:193], v[124:125], s[4:5], v[12:13]
	v_fma_f64 v[12:13], v[124:125], s[6:7], v[12:13]
	;; [unrolled: 1-line block ×4, first 2 shown]
	v_add_f64 v[197:198], v[60:61], -v[48:49]
	v_fma_f64 v[170:171], v[170:171], s[4:5], v[172:173]
	v_fma_f64 v[172:173], v[188:189], -0.5, v[74:75]
	v_add_f64 v[168:169], v[190:191], v[168:169]
	v_add_f64 v[188:189], v[0:1], v[8:9]
	v_fma_f64 v[190:191], v[195:196], s[10:11], v[192:193]
	v_add_f64 v[48:49], v[48:49], v[72:73]
	v_fma_f64 v[12:13], v[195:196], s[14:15], v[12:13]
	v_fma_f64 v[72:73], v[122:123], s[10:11], v[138:139]
	v_add_f64 v[199:200], v[64:65], -v[76:77]
	v_fma_f64 v[138:139], v[195:196], s[4:5], v[172:173]
	v_fma_f64 v[172:173], v[195:196], s[6:7], v[172:173]
	v_add_f64 v[195:196], v[4:5], v[188:189]
	v_fma_f64 v[190:191], v[168:169], s[16:17], v[190:191]
	v_add_f64 v[48:49], v[60:61], v[48:49]
	v_fma_f64 v[12:13], v[168:169], s[16:17], v[12:13]
	v_add_f64 v[60:61], v[62:63], -v[50:51]
	v_add_f64 v[168:169], v[66:67], -v[78:79]
	v_fma_f64 v[192:193], v[134:135], s[16:17], v[136:137]
	v_fma_f64 v[188:189], v[134:135], s[16:17], v[120:121]
	v_add_f64 v[120:121], v[32:33], v[195:196]
	v_mul_f64 v[136:137], v[190:191], s[10:11]
	v_add_f64 v[48:49], v[64:65], v[48:49]
	v_mul_f64 v[64:65], v[12:13], s[10:11]
	v_add_f64 v[197:198], v[199:200], v[197:198]
	v_fma_f64 v[122:123], v[122:123], s[14:15], v[170:171]
	v_add_f64 v[168:169], v[168:169], v[60:61]
	v_fma_f64 v[60:61], v[124:125], s[14:15], v[138:139]
	v_fma_f64 v[124:125], v[124:125], s[10:11], v[172:173]
	v_add_f64 v[134:135], v[16:17], v[120:121]
	v_fma_f64 v[138:139], v[188:189], s[20:21], v[136:137]
	v_add_f64 v[76:77], v[76:77], v[48:49]
	v_fma_f64 v[136:137], v[192:193], s[2:3], v[64:65]
	v_fma_f64 v[72:73], v[197:198], s[16:17], v[72:73]
	;; [unrolled: 1-line block ×5, first 2 shown]
	v_cmp_gt_u32_e64 s[2:3], 45, v174
	v_add_f64 v[120:121], v[132:133], v[138:139]
	v_add_f64 v[122:123], v[134:135], -v[76:77]
	v_add_f64 v[124:125], v[130:131], -v[136:137]
	ds_write_b128 v194, v[140:143] offset:48
	ds_write_b128 v194, v[144:147] offset:64
	;; [unrolled: 1-line block ×7, first 2 shown]
	s_and_saveexec_b64 s[20:21], s[2:3]
	s_cbranch_execz .LBB0_15
; %bb.14:
	v_add_f64 v[140:141], v[16:17], v[0:1]
	v_add_f64 v[142:143], v[32:33], -v[16:17]
	v_mul_f64 v[146:147], v[60:61], s[4:5]
	v_add_f64 v[136:137], v[130:131], v[136:137]
	v_add_f64 v[134:135], v[76:77], v[134:135]
	v_add_f64 v[132:133], v[132:133], -v[138:139]
	v_fma_f64 v[8:9], v[140:141], -0.5, v[8:9]
	v_add_f64 v[140:141], v[4:5], -v[0:1]
	v_fma_f64 v[144:145], v[128:129], s[4:5], v[8:9]
	v_fma_f64 v[8:9], v[128:129], s[6:7], v[8:9]
	v_mul_f64 v[128:129], v[64:65], s[4:5]
	v_add_f64 v[140:141], v[142:143], v[140:141]
	v_fma_f64 v[142:143], v[126:127], s[14:15], v[144:145]
	v_fma_f64 v[8:9], v[126:127], s[10:11], v[8:9]
	v_fma_f64 v[128:129], v[48:49], s[18:19], v[128:129]
	v_fma_f64 v[126:127], v[72:73], s[16:17], v[146:147]
	v_fma_f64 v[142:143], v[140:141], s[16:17], v[142:143]
	v_fma_f64 v[8:9], v[140:141], s[16:17], v[8:9]
	v_add_f64 v[140:141], v[142:143], v[128:129]
	v_add_f64 v[138:139], v[8:9], v[126:127]
	v_add_f64 v[126:127], v[8:9], -v[126:127]
	v_add_f64 v[130:131], v[142:143], -v[128:129]
	ds_write_b128 v194, v[120:123] offset:14432
	ds_write_b128 v194, v[134:137] offset:14400
	ds_write_b128 v194, v[138:141] offset:14416
	ds_write_b128 v194, v[124:127] offset:14448
	ds_write_b128 v194, v[130:133] offset:14464
.LBB0_15:
	s_or_b64 exec, exec, s[20:21]
	s_movk_i32 s4, 0xffb8
	v_mad_i32_i24 v175, v174, s4, v194
	v_add_u32_e32 v8, 0x1400, v175
	s_waitcnt lgkmcnt(0)
	s_barrier
	ds_read2_b64 v[166:169], v8 offset0:110 offset1:200
	v_add_u32_e32 v8, 0x2c00, v175
	ds_read2_b64 v[170:173], v8 offset0:92 offset1:182
	v_add_u32_e32 v8, 0x400, v175
	;; [unrolled: 2-line block ×10, first 2 shown]
	ds_read2_b64 v[138:141], v175 offset1:90
	ds_read2_b64 v[142:145], v8 offset0:120 offset1:210
	v_cmp_gt_u32_e32 vcc, 30, v174
	s_and_saveexec_b64 s[4:5], vcc
	s_cbranch_execz .LBB0_17
; %bb.16:
	ds_read_b64 v[120:121], v175 offset:5760
	ds_read_b64 v[122:123], v175 offset:11760
	;; [unrolled: 1-line block ×3, first 2 shown]
.LBB0_17:
	s_or_b64 exec, exec, s[4:5]
	v_add_f64 v[96:97], v[96:97], -v[112:113]
	v_add_f64 v[112:113], v[114:115], v[98:99]
	v_add_f64 v[8:9], v[102:103], v[106:107]
	;; [unrolled: 1-line block ×3, first 2 shown]
	v_add_f64 v[100:101], v[104:105], -v[100:101]
	s_mov_b32 s4, 0x134454ff
	s_mov_b32 s5, 0x3fee6f0e
	;; [unrolled: 1-line block ×4, first 2 shown]
	v_fma_f64 v[112:113], v[112:113], -0.5, v[118:119]
	v_fma_f64 v[8:9], v[8:9], -0.5, v[118:119]
	v_add_f64 v[104:105], v[98:99], -v[106:107]
	v_add_f64 v[76:77], v[106:107], v[76:77]
	v_add_f64 v[98:99], v[106:107], -v[98:99]
	v_add_f64 v[106:107], v[102:103], -v[114:115]
	v_add_f64 v[82:83], v[94:95], v[82:83]
	s_mov_b32 s6, 0x4755a5e
	v_fma_f64 v[94:95], v[100:101], s[14:15], v[112:113]
	s_mov_b32 s7, 0x3fe2cf23
	v_add_f64 v[195:196], v[114:115], -v[102:103]
	v_fma_f64 v[118:119], v[96:97], s[4:5], v[8:9]
	v_fma_f64 v[8:9], v[96:97], s[14:15], v[8:9]
	v_add_f64 v[98:99], v[106:107], v[98:99]
	v_add_f64 v[82:83], v[90:91], v[82:83]
	v_fma_f64 v[90:91], v[100:101], s[4:5], v[112:113]
	v_fma_f64 v[94:95], v[96:97], s[6:7], v[94:95]
	s_mov_b32 s10, 0x372fe950
	s_mov_b32 s11, 0x3fd3c6ef
	;; [unrolled: 1-line block ×4, first 2 shown]
	v_add_f64 v[104:105], v[195:196], v[104:105]
	v_add_f64 v[76:77], v[102:103], v[76:77]
	v_fma_f64 v[102:103], v[100:101], s[6:7], v[118:119]
	v_fma_f64 v[8:9], v[100:101], s[16:17], v[8:9]
	;; [unrolled: 1-line block ×3, first 2 shown]
	v_add_f64 v[82:83], v[110:111], v[82:83]
	v_mul_f64 v[94:95], v[182:183], s[6:7]
	v_fma_f64 v[90:91], v[96:97], s[16:17], v[90:91]
	v_mul_f64 v[96:97], v[108:109], s[10:11]
	s_mov_b32 s18, 0x9b97f4a8
	s_mov_b32 s19, 0x3fe9e377
	v_add_f64 v[76:77], v[114:115], v[76:77]
	v_fma_f64 v[102:103], v[104:105], s[10:11], v[102:103]
	v_mul_f64 v[106:107], v[180:181], s[4:5]
	v_mul_f64 v[108:109], v[178:179], s[18:19]
	v_add_f64 v[110:111], v[86:87], v[82:83]
	v_fma_f64 v[94:95], v[92:93], s[18:19], v[94:95]
	v_fma_f64 v[8:9], v[104:105], s[10:11], v[8:9]
	v_add_f64 v[92:93], v[46:47], v[30:31]
	v_fma_f64 v[104:105], v[88:89], s[4:5], -v[96:97]
	v_add_f64 v[96:97], v[22:23], v[70:71]
	v_add_f64 v[20:21], v[20:21], -v[56:57]
	v_add_f64 v[56:57], v[58:59], v[22:23]
	v_fma_f64 v[106:107], v[116:117], s[10:11], v[106:107]
	v_fma_f64 v[108:109], v[80:81], s[6:7], -v[108:109]
	v_add_f64 v[80:81], v[110:111], v[76:77]
	v_fma_f64 v[112:113], v[92:93], -0.5, v[70:71]
	v_add_f64 v[92:93], v[76:77], -v[110:111]
	v_add_f64 v[76:77], v[30:31], v[96:97]
	v_add_f64 v[28:29], v[28:29], -v[44:45]
	v_add_f64 v[26:27], v[38:39], v[26:27]
	v_fma_f64 v[38:39], v[56:57], -0.5, v[70:71]
	v_fma_f64 v[98:99], v[98:99], s[10:11], v[90:91]
	v_add_f64 v[82:83], v[102:103], v[94:95]
	v_add_f64 v[86:87], v[100:101], v[106:107]
	;; [unrolled: 1-line block ×3, first 2 shown]
	v_add_f64 v[94:95], v[102:103], -v[94:95]
	v_add_f64 v[96:97], v[100:101], -v[106:107]
	v_fma_f64 v[102:103], v[20:21], s[4:5], v[112:113]
	v_add_f64 v[100:101], v[8:9], -v[108:109]
	v_add_f64 v[8:9], v[46:47], v[76:77]
	v_add_f64 v[44:45], v[22:23], -v[30:31]
	v_add_f64 v[56:57], v[58:59], -v[46:47]
	v_fma_f64 v[76:77], v[20:21], s[14:15], v[112:113]
	v_add_f64 v[26:27], v[42:43], v[26:27]
	v_fma_f64 v[42:43], v[28:29], s[14:15], v[38:39]
	v_add_f64 v[22:23], v[30:31], -v[22:23]
	v_add_f64 v[30:31], v[46:47], -v[58:59]
	v_fma_f64 v[38:39], v[28:29], s[4:5], v[38:39]
	v_fma_f64 v[70:71], v[28:29], s[6:7], v[102:103]
	v_add_f64 v[44:45], v[56:57], v[44:45]
	v_add_f64 v[46:47], v[58:59], v[8:9]
	v_fma_f64 v[8:9], v[28:29], s[16:17], v[76:77]
	v_mul_f64 v[28:29], v[186:187], s[6:7]
	v_fma_f64 v[42:43], v[20:21], s[6:7], v[42:43]
	v_add_f64 v[22:23], v[30:31], v[22:23]
	v_fma_f64 v[20:21], v[20:21], s[16:17], v[38:39]
	v_add_f64 v[30:31], v[34:35], v[6:7]
	v_add_f64 v[26:27], v[54:55], v[26:27]
	v_add_f64 v[0:1], v[0:1], -v[16:17]
	v_fma_f64 v[56:57], v[44:45], s[10:11], v[8:9]
	v_fma_f64 v[58:59], v[184:185], s[18:19], v[28:29]
	v_mul_f64 v[8:9], v[52:53], s[4:5]
	v_fma_f64 v[52:53], v[22:23], s[10:11], v[42:43]
	v_fma_f64 v[20:21], v[22:23], s[10:11], v[20:21]
	v_add_f64 v[22:23], v[2:3], v[10:11]
	v_fma_f64 v[28:29], v[30:31], -0.5, v[10:11]
	v_add_f64 v[38:39], v[50:51], v[74:75]
	v_add_f64 v[14:15], v[14:15], v[26:27]
	v_mul_f64 v[16:17], v[68:69], s[18:19]
	v_fma_f64 v[40:41], v[40:41], s[10:11], v[8:9]
	v_mul_f64 v[8:9], v[84:85], s[10:11]
	v_add_f64 v[26:27], v[4:5], -v[32:33]
	v_add_f64 v[22:23], v[6:7], v[22:23]
	v_fma_f64 v[50:51], v[0:1], s[4:5], v[28:29]
	v_add_f64 v[4:5], v[2:3], -v[6:7]
	v_add_f64 v[32:33], v[18:19], -v[34:35]
	v_fma_f64 v[28:29], v[0:1], s[14:15], v[28:29]
	v_add_f64 v[38:39], v[62:63], v[38:39]
	v_fma_f64 v[62:63], v[36:37], s[4:5], -v[8:9]
	v_fma_f64 v[68:69], v[24:25], s[6:7], -v[16:17]
	v_add_f64 v[8:9], v[34:35], v[22:23]
	v_fma_f64 v[22:23], v[26:27], s[6:7], v[50:51]
	v_mul_f64 v[50:51], v[192:193], s[6:7]
	v_add_f64 v[4:5], v[32:33], v[4:5]
	v_fma_f64 v[24:25], v[26:27], s[16:17], v[28:29]
	v_mul_f64 v[28:29], v[190:191], s[18:19]
	v_add_f64 v[38:39], v[66:67], v[38:39]
	v_fma_f64 v[54:55], v[44:45], s[10:11], v[70:71]
	v_add_f64 v[16:17], v[18:19], v[8:9]
	v_add_f64 v[42:43], v[14:15], v[46:47]
	;; [unrolled: 1-line block ×3, first 2 shown]
	v_fma_f64 v[22:23], v[4:5], s[10:11], v[22:23]
	v_fma_f64 v[4:5], v[4:5], s[10:11], v[24:25]
	v_fma_f64 v[8:9], v[188:189], s[6:7], -v[28:29]
	v_add_f64 v[24:25], v[78:79], v[38:39]
	v_fma_f64 v[28:29], v[12:13], s[18:19], v[50:51]
	v_add_f64 v[44:45], v[54:55], v[58:59]
	v_add_f64 v[38:39], v[46:47], -v[14:15]
	v_add_f64 v[50:51], v[54:55], -v[58:59]
	;; [unrolled: 1-line block ×3, first 2 shown]
	v_add_f64 v[88:89], v[98:99], v[104:105]
	v_add_f64 v[12:13], v[4:5], v[8:9]
	v_add_f64 v[14:15], v[16:17], -v[24:25]
	v_add_f64 v[20:21], v[22:23], -v[28:29]
	;; [unrolled: 1-line block ×3, first 2 shown]
	v_add_f64 v[30:31], v[52:53], v[40:41]
	v_add_f64 v[36:37], v[56:57], v[68:69]
	v_add_u32_e32 v178, 0xb4, v174
	v_add_f64 v[52:53], v[52:53], -v[40:41]
	v_add_f64 v[56:57], v[56:57], -v[68:69]
	s_waitcnt lgkmcnt(0)
	s_barrier
	ds_write_b128 v194, v[80:83]
	ds_write_b128 v194, v[86:89] offset:16
	ds_write_b128 v194, v[90:93] offset:32
	;; [unrolled: 1-line block ×9, first 2 shown]
	s_and_saveexec_b64 s[18:19], s[2:3]
	s_cbranch_execz .LBB0_19
; %bb.18:
	v_add_f64 v[30:31], v[18:19], v[2:3]
	v_add_f64 v[2:3], v[6:7], -v[2:3]
	v_add_f64 v[6:7], v[34:35], -v[18:19]
	v_fma_f64 v[10:11], v[30:31], -0.5, v[10:11]
	v_mul_f64 v[30:31], v[64:65], s[10:11]
	v_add_f64 v[2:3], v[6:7], v[2:3]
	v_fma_f64 v[18:19], v[26:27], s[14:15], v[10:11]
	v_fma_f64 v[10:11], v[26:27], s[4:5], v[10:11]
	v_mul_f64 v[26:27], v[72:73], s[4:5]
	v_fma_f64 v[6:7], v[0:1], s[6:7], v[18:19]
	v_fma_f64 v[0:1], v[0:1], s[16:17], v[10:11]
	;; [unrolled: 1-line block ×3, first 2 shown]
	v_fma_f64 v[26:27], v[48:49], s[4:5], -v[30:31]
	v_fma_f64 v[30:31], v[2:3], s[10:11], v[6:7]
	v_fma_f64 v[32:33], v[2:3], s[10:11], v[0:1]
	v_add_f64 v[0:1], v[24:25], v[16:17]
	v_add_f64 v[2:3], v[22:23], v[28:29]
	v_add_f64 v[6:7], v[4:5], -v[8:9]
	v_mul_u32_u24_e32 v16, 10, v178
	v_lshl_add_u32 v16, v16, 3, 0
	v_add_f64 v[8:9], v[30:31], v[18:19]
	v_add_f64 v[10:11], v[32:33], v[26:27]
	v_add_f64 v[22:23], v[30:31], -v[18:19]
	v_add_f64 v[4:5], v[32:33], -v[26:27]
	ds_write_b128 v16, v[12:15] offset:32
	ds_write_b128 v16, v[0:3]
	ds_write_b128 v16, v[8:11] offset:16
	ds_write_b128 v16, v[20:23] offset:48
	;; [unrolled: 1-line block ×3, first 2 shown]
.LBB0_19:
	s_or_b64 exec, exec, s[18:19]
	v_add_u32_e32 v0, 0x1400, v175
	s_waitcnt lgkmcnt(0)
	s_barrier
	ds_read2_b64 v[46:49], v0 offset0:110 offset1:200
	v_add_u32_e32 v0, 0x2c00, v175
	ds_read2_b64 v[50:53], v0 offset0:92 offset1:182
	v_add_u32_e32 v0, 0x400, v175
	;; [unrolled: 2-line block ×7, first 2 shown]
	v_add_u32_e32 v22, 0x2800, v175
	ds_read2_b64 v[30:33], v0 offset0:68 offset1:158
	v_add_u32_e32 v0, 0x1000, v175
	ds_read2_b64 v[26:29], v22 offset0:10 offset1:100
	v_add_u32_e32 v22, 0x3c00, v175
	ds_read2_b64 v[16:19], v175 offset1:90
	ds_read2_b64 v[0:3], v0 offset0:28 offset1:118
	ds_read2_b64 v[22:25], v22 offset0:120 offset1:210
	s_and_saveexec_b64 s[2:3], vcc
	s_cbranch_execz .LBB0_21
; %bb.20:
	ds_read_b64 v[12:13], v175 offset:5760
	ds_read_b64 v[14:15], v175 offset:11760
	;; [unrolled: 1-line block ×3, first 2 shown]
.LBB0_21:
	s_or_b64 exec, exec, s[2:3]
	s_movk_i32 s2, 0xcd
	v_mul_lo_u16_sdwa v54, v174, s2 dst_sel:DWORD dst_unused:UNUSED_PAD src0_sel:BYTE_0 src1_sel:DWORD
	v_lshrrev_b16_e32 v214, 11, v54
	v_mul_lo_u16_e32 v54, 10, v214
	v_sub_u16_e32 v215, v174, v54
	v_mov_b32_e32 v62, 5
	v_add_u32_e32 v181, 0x5a, v174
	v_lshlrev_b32_sdwa v63, v62, v215 dst_sel:DWORD dst_unused:UNUSED_PAD src0_sel:DWORD src1_sel:BYTE_0
	v_add_u32_e32 v179, 0x10e, v174
	global_load_dwordx4 v[54:57], v63, s[8:9] offset:16
	global_load_dwordx4 v[58:61], v63, s[8:9]
	v_mul_lo_u16_sdwa v63, v181, s2 dst_sel:DWORD dst_unused:UNUSED_PAD src0_sel:BYTE_0 src1_sel:DWORD
	s_mov_b32 s2, 0xcccd
	v_mul_u32_u24_sdwa v70, v178, s2 dst_sel:DWORD dst_unused:UNUSED_PAD src0_sel:WORD_0 src1_sel:DWORD
	v_mul_u32_u24_sdwa v78, v179, s2 dst_sel:DWORD dst_unused:UNUSED_PAD src0_sel:WORD_0 src1_sel:DWORD
	v_lshrrev_b16_e32 v216, 11, v63
	v_lshrrev_b32_e32 v218, 19, v70
	v_lshrrev_b32_e32 v220, 19, v78
	v_mul_lo_u16_e32 v63, 10, v216
	v_mul_lo_u16_e32 v70, 10, v218
	v_mul_lo_u16_e32 v78, 10, v220
	v_sub_u16_e32 v217, v181, v63
	v_sub_u16_e32 v219, v178, v70
	;; [unrolled: 1-line block ×3, first 2 shown]
	v_lshlrev_b32_sdwa v66, v62, v217 dst_sel:DWORD dst_unused:UNUSED_PAD src0_sel:DWORD src1_sel:BYTE_0
	v_lshlrev_b32_e32 v74, 5, v219
	v_lshlrev_b32_e32 v78, 5, v221
	v_add_u32_e32 v180, 0x168, v174
	global_load_dwordx4 v[62:65], v66, s[8:9] offset:16
	s_nop 0
	global_load_dwordx4 v[66:69], v66, s[8:9]
	s_nop 0
	global_load_dwordx4 v[70:73], v74, s[8:9] offset:16
	s_nop 0
	global_load_dwordx4 v[74:77], v74, s[8:9]
	s_nop 0
	global_load_dwordx4 v[90:93], v78, s[8:9]
	global_load_dwordx4 v[94:97], v78, s[8:9] offset:16
	v_mul_u32_u24_sdwa v78, v180, s2 dst_sel:DWORD dst_unused:UNUSED_PAD src0_sel:WORD_0 src1_sel:DWORD
	v_lshrrev_b32_e32 v222, 19, v78
	v_mul_lo_u16_e32 v78, 10, v222
	v_sub_u16_e32 v223, v180, v78
	v_add_u32_e32 v182, 0x1c2, v174
	v_lshlrev_b32_e32 v78, 5, v223
	global_load_dwordx4 v[98:101], v78, s[8:9] offset:16
	global_load_dwordx4 v[102:105], v78, s[8:9]
	v_mul_u32_u24_sdwa v78, v182, s2 dst_sel:DWORD dst_unused:UNUSED_PAD src0_sel:WORD_0 src1_sel:DWORD
	v_lshrrev_b32_e32 v224, 19, v78
	v_mul_lo_u16_e32 v78, 10, v224
	v_sub_u16_e32 v225, v182, v78
	v_lshlrev_b32_e32 v78, 5, v225
	v_add_u32_e32 v184, 0x21c, v174
	global_load_dwordx4 v[106:109], v78, s[8:9]
	global_load_dwordx4 v[110:113], v78, s[8:9] offset:16
	v_mul_u32_u24_sdwa v78, v184, s2 dst_sel:DWORD dst_unused:UNUSED_PAD src0_sel:WORD_0 src1_sel:DWORD
	v_lshrrev_b32_e32 v226, 19, v78
	v_mul_lo_u16_e32 v78, 10, v226
	v_sub_u16_e32 v227, v184, v78
	v_add_u32_e32 v183, 0x276, v174
	v_lshlrev_b32_e32 v78, 5, v227
	global_load_dwordx4 v[114:117], v78, s[8:9] offset:16
	global_load_dwordx4 v[186:189], v78, s[8:9]
	v_mul_u32_u24_sdwa v78, v183, s2 dst_sel:DWORD dst_unused:UNUSED_PAD src0_sel:WORD_0 src1_sel:DWORD
	v_lshrrev_b32_e32 v228, 19, v78
	v_mul_lo_u16_e32 v78, 10, v228
	v_sub_u16_e32 v229, v183, v78
	v_lshlrev_b32_e32 v78, 5, v229
	global_load_dwordx4 v[190:193], v78, s[8:9]
	global_load_dwordx4 v[194:197], v78, s[8:9] offset:16
	v_add_u32_e32 v185, 0x2d0, v174
	v_mul_u32_u24_sdwa v78, v185, s2 dst_sel:DWORD dst_unused:UNUSED_PAD src0_sel:WORD_0 src1_sel:DWORD
	v_lshrrev_b32_e32 v230, 19, v78
	v_mul_lo_u16_e32 v78, 10, v230
	v_sub_u16_e32 v231, v185, v78
	v_lshlrev_b32_e32 v78, 5, v231
	global_load_dwordx4 v[198:201], v78, s[8:9]
	global_load_dwordx4 v[202:205], v78, s[8:9] offset:16
	s_mov_b32 s2, 0xe8584caa
	s_mov_b32 s3, 0xbfebb67a
	;; [unrolled: 1-line block ×4, first 2 shown]
	s_waitcnt vmcnt(0) lgkmcnt(0)
	s_barrier
	v_mul_f64 v[80:81], v[50:51], v[56:57]
	v_mul_f64 v[78:79], v[46:47], v[60:61]
	;; [unrolled: 1-line block ×4, first 2 shown]
	v_fma_f64 v[84:85], v[170:171], v[54:55], v[80:81]
	v_fma_f64 v[78:79], v[166:167], v[58:59], v[78:79]
	v_fma_f64 v[82:83], v[46:47], v[58:59], -v[60:61]
	v_fma_f64 v[60:61], v[50:51], v[54:55], -v[56:57]
	v_mul_f64 v[118:119], v[52:53], v[64:65]
	v_mul_f64 v[86:87], v[48:49], v[68:69]
	;; [unrolled: 1-line block ×10, first 2 shown]
	v_fma_f64 v[80:81], v[168:169], v[66:67], v[86:87]
	v_fma_f64 v[86:87], v[172:173], v[62:63], v[118:119]
	v_fma_f64 v[64:65], v[52:53], v[62:63], -v[64:65]
	v_fma_f64 v[62:63], v[38:39], v[70:71], -v[210:211]
	v_mul_f64 v[38:39], v[160:161], v[96:97]
	v_mul_f64 v[50:51], v[154:155], v[104:105]
	v_fma_f64 v[76:77], v[42:43], v[74:75], -v[76:77]
	v_mul_f64 v[42:43], v[40:41], v[96:97]
	v_mul_f64 v[54:55], v[150:151], v[100:101]
	v_fma_f64 v[88:89], v[48:49], v[66:67], -v[68:69]
	v_fma_f64 v[48:49], v[164:165], v[90:91], v[212:213]
	v_fma_f64 v[66:67], v[44:45], v[90:91], -v[92:93]
	v_mul_f64 v[44:45], v[34:35], v[104:105]
	v_mul_f64 v[56:57], v[36:37], v[108:109]
	v_fma_f64 v[46:47], v[40:41], v[94:95], -v[38:39]
	v_mul_f64 v[38:39], v[156:157], v[108:109]
	v_fma_f64 v[50:51], v[34:35], v[102:103], -v[50:51]
	v_mul_f64 v[34:35], v[32:33], v[112:113]
	v_mul_f64 v[68:69], v[146:147], v[188:189]
	;; [unrolled: 1-line block ×3, first 2 shown]
	v_fma_f64 v[58:59], v[160:161], v[94:95], v[42:43]
	v_mul_f64 v[52:53], v[30:31], v[100:101]
	v_fma_f64 v[40:41], v[30:31], v[98:99], -v[54:55]
	v_mul_f64 v[30:31], v[152:153], v[112:113]
	v_mul_f64 v[92:93], v[28:29], v[192:193]
	;; [unrolled: 1-line block ×3, first 2 shown]
	v_fma_f64 v[42:43], v[154:155], v[102:103], v[44:45]
	v_fma_f64 v[44:45], v[156:157], v[106:107], v[56:57]
	v_fma_f64 v[54:55], v[36:37], v[106:107], -v[38:39]
	v_mul_f64 v[36:37], v[26:27], v[188:189]
	v_fma_f64 v[56:57], v[152:153], v[110:111], v[34:35]
	v_fma_f64 v[34:35], v[26:27], v[186:187], -v[68:69]
	v_fma_f64 v[26:27], v[22:23], v[114:115], -v[90:91]
	v_add_f64 v[90:91], v[78:79], v[84:85]
	v_fma_f64 v[72:73], v[162:163], v[74:75], v[206:207]
	v_fma_f64 v[74:75], v[158:159], v[70:71], v[208:209]
	;; [unrolled: 1-line block ×3, first 2 shown]
	v_mul_f64 v[70:71], v[22:23], v[116:117]
	v_fma_f64 v[38:39], v[32:33], v[110:111], -v[30:31]
	v_fma_f64 v[32:33], v[148:149], v[190:191], v[92:93]
	v_mul_f64 v[22:23], v[144:145], v[196:197]
	v_fma_f64 v[28:29], v[28:29], v[190:191], -v[94:95]
	v_mul_f64 v[92:93], v[122:123], v[200:201]
	v_mul_f64 v[94:95], v[20:21], v[204:205]
	v_add_f64 v[98:99], v[138:139], v[78:79]
	v_mul_f64 v[96:97], v[124:125], v[204:205]
	v_fma_f64 v[90:91], v[90:91], -0.5, v[138:139]
	v_add_f64 v[100:101], v[82:83], -v[60:61]
	v_fma_f64 v[30:31], v[146:147], v[186:187], v[36:37]
	v_mul_f64 v[68:69], v[24:25], v[196:197]
	v_fma_f64 v[36:37], v[142:143], v[114:115], v[70:71]
	v_mul_f64 v[70:71], v[14:15], v[200:201]
	v_fma_f64 v[24:25], v[24:25], v[194:195], -v[22:23]
	v_fma_f64 v[22:23], v[14:15], v[198:199], -v[92:93]
	v_fma_f64 v[14:15], v[124:125], v[202:203], v[94:95]
	v_add_f64 v[94:95], v[98:99], v[84:85]
	v_add_f64 v[98:99], v[140:141], v[80:81]
	v_fma_f64 v[20:21], v[20:21], v[202:203], -v[96:97]
	v_fma_f64 v[96:97], v[100:101], s[2:3], v[90:91]
	v_add_f64 v[102:103], v[72:73], v[74:75]
	v_fma_f64 v[106:107], v[100:101], s[4:5], v[90:91]
	v_add_f64 v[90:91], v[134:135], v[72:73]
	v_add_f64 v[92:93], v[80:81], v[86:87]
	v_add_f64 v[114:115], v[66:67], -v[46:47]
	v_add_f64 v[108:109], v[98:99], v[86:87]
	v_add_f64 v[98:99], v[48:49], v[58:59]
	v_fma_f64 v[68:69], v[144:145], v[194:195], v[68:69]
	v_fma_f64 v[100:101], v[102:103], -0.5, v[134:135]
	v_add_f64 v[102:103], v[76:77], -v[62:63]
	v_add_f64 v[112:113], v[90:91], v[74:75]
	v_add_f64 v[90:91], v[42:43], v[52:53]
	v_fma_f64 v[70:71], v[122:123], v[198:199], v[70:71]
	v_add_f64 v[122:123], v[50:51], -v[40:41]
	v_fma_f64 v[98:99], v[98:99], -0.5, v[136:137]
	v_fma_f64 v[92:93], v[92:93], -0.5, v[140:141]
	v_add_f64 v[104:105], v[88:89], -v[64:65]
	v_fma_f64 v[116:117], v[102:103], s[2:3], v[100:101]
	v_fma_f64 v[102:103], v[102:103], s[4:5], v[100:101]
	v_add_f64 v[100:101], v[44:45], v[56:57]
	v_fma_f64 v[90:91], v[90:91], -0.5, v[130:131]
	v_add_f64 v[140:141], v[126:127], v[30:31]
	v_fma_f64 v[124:125], v[114:115], s[2:3], v[98:99]
	v_fma_f64 v[114:115], v[114:115], s[4:5], v[98:99]
	v_add_f64 v[98:99], v[132:133], v[44:45]
	v_fma_f64 v[110:111], v[104:105], s[2:3], v[92:93]
	v_fma_f64 v[92:93], v[104:105], s[4:5], v[92:93]
	v_fma_f64 v[100:101], v[100:101], -0.5, v[132:133]
	v_add_f64 v[132:133], v[30:31], v[36:37]
	v_fma_f64 v[134:135], v[122:123], s[2:3], v[90:91]
	v_fma_f64 v[122:123], v[122:123], s[4:5], v[90:91]
	v_add_f64 v[90:91], v[32:33], v[68:69]
	v_add_f64 v[104:105], v[136:137], v[48:49]
	;; [unrolled: 1-line block ×5, first 2 shown]
	v_fma_f64 v[126:127], v[132:133], -0.5, v[126:127]
	v_add_f64 v[132:133], v[34:35], -v[26:27]
	v_add_f64 v[118:119], v[130:131], v[42:43]
	v_fma_f64 v[90:91], v[90:91], -0.5, v[128:129]
	v_add_f64 v[128:129], v[28:29], -v[24:25]
	v_add_f64 v[130:131], v[54:55], -v[38:39]
	v_fma_f64 v[98:99], v[98:99], -0.5, v[120:121]
	v_add_f64 v[144:145], v[22:23], -v[20:21]
	v_add_f64 v[104:105], v[104:105], v[58:59]
	v_fma_f64 v[146:147], v[132:133], s[2:3], v[126:127]
	v_fma_f64 v[126:127], v[132:133], s[4:5], v[126:127]
	v_add_f64 v[132:133], v[142:143], v[68:69]
	v_fma_f64 v[142:143], v[128:129], s[2:3], v[90:91]
	v_fma_f64 v[128:129], v[128:129], s[4:5], v[90:91]
	v_mov_b32_e32 v91, 3
	v_fma_f64 v[138:139], v[130:131], s[2:3], v[100:101]
	v_fma_f64 v[130:131], v[130:131], s[4:5], v[100:101]
	;; [unrolled: 1-line block ×4, first 2 shown]
	v_mul_u32_u24_e32 v90, 0xf0, v214
	v_lshlrev_b32_sdwa v144, v91, v215 dst_sel:DWORD dst_unused:UNUSED_PAD src0_sel:DWORD src1_sel:BYTE_0
	v_add3_u32 v90, 0, v90, v144
	ds_write2_b64 v90, v[94:95], v[96:97] offset1:10
	ds_write_b64 v90, v[106:107] offset:160
	v_mul_u32_u24_e32 v94, 0xf0, v216
	v_lshlrev_b32_sdwa v91, v91, v217 dst_sel:DWORD dst_unused:UNUSED_PAD src0_sel:DWORD src1_sel:BYTE_0
	v_add_f64 v[118:119], v[118:119], v[52:53]
	v_add_f64 v[140:141], v[140:141], v[36:37]
	v_add3_u32 v91, 0, v94, v91
	ds_write2_b64 v91, v[108:109], v[110:111] offset1:10
	ds_write_b64 v91, v[92:93] offset:160
	v_mul_u32_u24_e32 v92, 0xf0, v218
	v_lshlrev_b32_e32 v93, 3, v219
	v_add3_u32 v92, 0, v92, v93
	v_mul_u32_u24_e32 v93, 0xf0, v220
	v_lshlrev_b32_e32 v94, 3, v221
	v_add3_u32 v93, 0, v93, v94
	;; [unrolled: 3-line block ×6, first 2 shown]
	v_mul_lo_u16_e32 v96, 30, v230
	v_lshlrev_b32_e32 v97, 3, v231
	ds_write2_b64 v92, v[112:113], v[116:117] offset1:10
	ds_write_b64 v92, v[102:103] offset:160
	ds_write2_b64 v93, v[104:105], v[124:125] offset1:10
	ds_write_b64 v93, v[114:115] offset:160
	;; [unrolled: 2-line block ×6, first 2 shown]
	s_and_saveexec_b64 s[6:7], vcc
	s_cbranch_execz .LBB0_23
; %bb.22:
	v_add_f64 v[102:103], v[120:121], v[70:71]
	v_lshlrev_b32_e32 v104, 3, v96
	v_add3_u32 v104, 0, v97, v104
	v_add_f64 v[102:103], v[102:103], v[14:15]
	ds_write2_b64 v104, v[102:103], v[100:101] offset1:10
	ds_write_b64 v104, v[98:99] offset:160
.LBB0_23:
	s_or_b64 exec, exec, s[6:7]
	v_add_f64 v[102:103], v[82:83], v[60:61]
	v_add_f64 v[104:105], v[88:89], v[64:65]
	;; [unrolled: 1-line block ×3, first 2 shown]
	v_add_f64 v[78:79], v[78:79], -v[84:85]
	v_add_f64 v[80:81], v[80:81], -v[86:87]
	v_add_f64 v[86:87], v[76:77], v[62:63]
	v_add_f64 v[72:73], v[72:73], -v[74:75]
	v_add_f64 v[74:75], v[66:67], v[46:47]
	v_fma_f64 v[16:17], v[102:103], -0.5, v[16:17]
	v_add_f64 v[84:85], v[18:19], v[88:89]
	v_fma_f64 v[18:19], v[104:105], -0.5, v[18:19]
	v_add_f64 v[76:77], v[8:9], v[76:77]
	v_add_f64 v[48:49], v[48:49], -v[58:59]
	v_fma_f64 v[8:9], v[86:87], -0.5, v[8:9]
	v_add_f64 v[14:15], v[70:71], -v[14:15]
	v_add_f64 v[82:83], v[82:83], v[60:61]
	v_fma_f64 v[86:87], v[78:79], s[4:5], v[16:17]
	v_fma_f64 v[78:79], v[78:79], s[2:3], v[16:17]
	v_add_f64 v[16:17], v[10:11], v[66:67]
	v_fma_f64 v[10:11], v[74:75], -0.5, v[10:11]
	v_fma_f64 v[88:89], v[80:81], s[4:5], v[18:19]
	v_fma_f64 v[80:81], v[80:81], s[2:3], v[18:19]
	v_add_f64 v[18:19], v[50:51], v[40:41]
	v_add_f64 v[66:67], v[76:77], v[62:63]
	v_fma_f64 v[74:75], v[72:73], s[4:5], v[8:9]
	v_fma_f64 v[72:73], v[72:73], s[2:3], v[8:9]
	v_add_f64 v[8:9], v[54:55], v[38:39]
	v_fma_f64 v[76:77], v[48:49], s[4:5], v[10:11]
	v_fma_f64 v[48:49], v[48:49], s[2:3], v[10:11]
	v_add_f64 v[10:11], v[6:7], v[54:55]
	v_add_f64 v[46:47], v[16:17], v[46:47]
	;; [unrolled: 1-line block ×3, first 2 shown]
	v_fma_f64 v[4:5], v[18:19], -0.5, v[4:5]
	v_add_f64 v[18:19], v[42:43], -v[52:53]
	v_fma_f64 v[6:7], v[8:9], -0.5, v[6:7]
	v_add_f64 v[8:9], v[44:45], -v[56:57]
	v_add_f64 v[84:85], v[84:85], v[64:65]
	v_add_f64 v[112:113], v[10:11], v[38:39]
	;; [unrolled: 1-line block ×5, first 2 shown]
	v_fma_f64 v[108:109], v[18:19], s[4:5], v[4:5]
	v_fma_f64 v[110:111], v[18:19], s[2:3], v[4:5]
	v_add_f64 v[4:5], v[28:29], v[24:25]
	v_add_f64 v[18:19], v[0:1], v[34:35]
	v_add_f64 v[28:29], v[2:3], v[28:29]
	v_fma_f64 v[10:11], v[10:11], -0.5, v[12:13]
	v_add_u32_e32 v148, 0x800, v175
	v_fma_f64 v[0:1], v[16:17], -0.5, v[0:1]
	v_add_f64 v[16:17], v[30:31], -v[36:37]
	v_add_u32_e32 v40, 0x1800, v175
	v_fma_f64 v[2:3], v[4:5], -0.5, v[2:3]
	v_add_f64 v[4:5], v[32:33], -v[68:69]
	v_add_u32_e32 v42, 0x2400, v175
	v_fma_f64 v[104:105], v[14:15], s[4:5], v[10:11]
	v_fma_f64 v[102:103], v[14:15], s[2:3], v[10:11]
	v_add_u32_e32 v149, 0x3800, v175
	v_add_u32_e32 v150, 0x1000, v175
	;; [unrolled: 1-line block ×8, first 2 shown]
	v_fma_f64 v[114:115], v[8:9], s[4:5], v[6:7]
	v_fma_f64 v[68:69], v[8:9], s[2:3], v[6:7]
	v_add_f64 v[70:71], v[18:19], v[26:27]
	v_fma_f64 v[116:117], v[16:17], s[4:5], v[0:1]
	v_fma_f64 v[118:119], v[16:17], s[2:3], v[0:1]
	v_add_f64 v[120:121], v[28:29], v[24:25]
	v_fma_f64 v[122:123], v[4:5], s[4:5], v[2:3]
	v_fma_f64 v[124:125], v[4:5], s[2:3], v[2:3]
	s_waitcnt lgkmcnt(0)
	s_barrier
	ds_read2_b64 v[8:11], v175 offset1:90
	ds_read2_b64 v[0:3], v148 offset0:104 offset1:194
	ds_read2_b64 v[58:61], v40 offset0:132 offset1:222
	;; [unrolled: 1-line block ×11, first 2 shown]
	ds_read_b64 v[18:19], v175 offset:17280
	s_waitcnt lgkmcnt(0)
	s_barrier
	ds_write2_b64 v90, v[82:83], v[86:87] offset1:10
	ds_write_b64 v90, v[78:79] offset:160
	ds_write2_b64 v91, v[84:85], v[88:89] offset1:10
	ds_write_b64 v91, v[80:81] offset:160
	;; [unrolled: 2-line block ×8, first 2 shown]
	s_and_saveexec_b64 s[2:3], vcc
	s_cbranch_execz .LBB0_25
; %bb.24:
	v_add_f64 v[12:13], v[12:13], v[22:23]
	v_add_f64 v[12:13], v[12:13], v[20:21]
	v_lshlrev_b32_e32 v20, 3, v96
	v_add3_u32 v20, 0, v97, v20
	ds_write2_b64 v20, v[12:13], v[104:105] offset1:10
	ds_write_b64 v20, v[102:103] offset:160
.LBB0_25:
	s_or_b64 exec, exec, s[2:3]
	s_movk_i32 s2, 0x89
	v_mul_lo_u16_sdwa v12, v174, s2 dst_sel:DWORD dst_unused:UNUSED_PAD src0_sel:BYTE_0 src1_sel:DWORD
	v_lshrrev_b16_e32 v12, 12, v12
	v_mul_lo_u16_e32 v13, 30, v12
	v_sub_u16_e32 v13, v174, v13
	v_mov_b32_e32 v20, 6
	v_lshlrev_b32_sdwa v21, v20, v13 dst_sel:DWORD dst_unused:UNUSED_PAD src0_sel:DWORD src1_sel:BYTE_0
	s_waitcnt lgkmcnt(0)
	s_barrier
	global_load_dwordx4 v[66:69], v21, s[8:9] offset:368
	global_load_dwordx4 v[70:73], v21, s[8:9] offset:352
	;; [unrolled: 1-line block ×4, first 2 shown]
	v_mul_lo_u16_sdwa v21, v181, s2 dst_sel:DWORD dst_unused:UNUSED_PAD src0_sel:BYTE_0 src1_sel:DWORD
	v_lshrrev_b16_e32 v156, 12, v21
	v_mul_lo_u16_e32 v21, 30, v156
	v_sub_u16_e32 v157, v181, v21
	v_lshlrev_b32_sdwa v20, v20, v157 dst_sel:DWORD dst_unused:UNUSED_PAD src0_sel:DWORD src1_sel:BYTE_0
	s_mov_b32 s2, 0x8889
	global_load_dwordx4 v[82:85], v20, s[8:9] offset:336
	global_load_dwordx4 v[86:89], v20, s[8:9] offset:320
	global_load_dwordx4 v[90:93], v20, s[8:9] offset:368
	global_load_dwordx4 v[94:97], v20, s[8:9] offset:352
	v_mul_u32_u24_sdwa v20, v178, s2 dst_sel:DWORD dst_unused:UNUSED_PAD src0_sel:WORD_0 src1_sel:DWORD
	v_lshrrev_b32_e32 v158, 20, v20
	v_mul_lo_u16_e32 v20, 30, v158
	v_sub_u16_e32 v159, v178, v20
	v_lshlrev_b32_e32 v20, 6, v159
	global_load_dwordx4 v[118:121], v20, s[8:9] offset:320
	global_load_dwordx4 v[160:163], v20, s[8:9] offset:336
	global_load_dwordx4 v[164:167], v20, s[8:9] offset:352
	global_load_dwordx4 v[168:171], v20, s[8:9] offset:368
	v_mul_u32_u24_sdwa v20, v179, s2 dst_sel:DWORD dst_unused:UNUSED_PAD src0_sel:WORD_0 src1_sel:DWORD
	v_lshrrev_b32_e32 v250, 20, v20
	v_mul_lo_u16_e32 v20, 30, v250
	v_sub_u16_e32 v251, v179, v20
	v_lshlrev_b32_e32 v20, 6, v251
	;; [unrolled: 9-line block ×3, first 2 shown]
	global_load_dwordx4 v[202:205], v43, s[8:9] offset:320
	global_load_dwordx4 v[206:209], v43, s[8:9] offset:336
	ds_read2_b64 v[46:49], v175 offset1:90
	ds_read2_b64 v[20:23], v148 offset0:104 offset1:194
	ds_read2_b64 v[108:111], v40 offset0:132 offset1:222
	ds_read2_b64 v[210:213], v42 offset0:108 offset1:198
	ds_read2_b64 v[112:115], v149 offset0:8 offset1:98
	global_load_dwordx4 v[214:217], v43, s[8:9] offset:368
	global_load_dwordx4 v[218:221], v43, s[8:9] offset:352
	ds_read2_b64 v[222:225], v150 offset0:28 offset1:118
	ds_read2_b64 v[226:229], v151 offset0:160 offset1:250
	;; [unrolled: 1-line block ×7, first 2 shown]
	ds_read_b64 v[106:107], v175 offset:17280
	s_mov_b32 s2, 0x134454ff
	s_mov_b32 s3, 0xbfee6f0e
	;; [unrolled: 1-line block ×10, first 2 shown]
	v_mul_u32_u24_e32 v12, 0x4b0, v12
	s_waitcnt vmcnt(0) lgkmcnt(0)
	s_barrier
	v_mul_f64 v[126:127], v[112:113], v[68:69]
	v_mul_f64 v[124:125], v[212:213], v[72:73]
	;; [unrolled: 1-line block ×9, first 2 shown]
	v_fma_f64 v[142:143], v[16:17], v[70:71], v[124:125]
	v_mul_f64 v[172:173], v[226:227], v[96:97]
	v_mul_f64 v[96:97], v[50:51], v[96:97]
	v_fma_f64 v[144:145], v[2:3], v[78:79], v[116:117]
	v_mul_f64 v[248:249], v[224:225], v[120:121]
	v_mul_f64 v[2:3], v[56:57], v[120:121]
	;; [unrolled: 1-line block ×6, first 2 shown]
	v_fma_f64 v[138:139], v[22:23], v[78:79], -v[80:81]
	v_fma_f64 v[130:131], v[212:213], v[70:71], -v[72:73]
	v_fma_f64 v[146:147], v[62:63], v[66:67], v[126:127]
	v_fma_f64 v[126:127], v[112:113], v[66:67], -v[68:69]
	v_fma_f64 v[134:135], v[54:55], v[86:87], v[128:129]
	v_fma_f64 v[128:129], v[50:51], v[94:95], v[172:173]
	v_fma_f64 v[112:113], v[226:227], v[94:95], -v[96:97]
	v_mul_f64 v[22:23], v[36:37], v[162:163]
	v_fma_f64 v[116:117], v[56:57], v[118:119], v[248:249]
	v_mul_f64 v[56:57], v[234:235], v[170:171]
	v_fma_f64 v[72:73], v[224:225], v[118:119], -v[2:3]
	v_fma_f64 v[94:95], v[36:37], v[160:161], v[16:17]
	v_mul_f64 v[2:3], v[238:239], v[188:189]
	v_mul_f64 v[16:17], v[28:29], v[188:189]
	;; [unrolled: 1-line block ×4, first 2 shown]
	v_fma_f64 v[140:141], v[58:59], v[74:75], v[122:123]
	v_fma_f64 v[132:133], v[108:109], v[74:75], -v[76:77]
	v_fma_f64 v[124:125], v[60:61], v[82:83], v[136:137]
	v_fma_f64 v[136:137], v[64:65], v[90:91], v[246:247]
	v_fma_f64 v[114:115], v[114:115], v[90:91], -v[92:93]
	v_mul_f64 v[50:51], v[228:229], v[166:167]
	v_mul_f64 v[58:59], v[32:33], v[170:171]
	v_fma_f64 v[74:75], v[230:231], v[160:161], -v[22:23]
	v_fma_f64 v[122:123], v[32:33], v[168:169], v[56:57]
	v_mul_f64 v[22:23], v[232:233], v[192:193]
	v_mul_f64 v[32:33], v[38:39], v[192:193]
	;; [unrolled: 1-line block ×3, first 2 shown]
	v_fma_f64 v[90:91], v[28:29], v[186:187], v[2:3]
	v_mul_f64 v[2:3], v[236:237], v[200:201]
	v_mul_f64 v[28:29], v[34:35], v[200:201]
	v_fma_f64 v[60:61], v[238:239], v[186:187], -v[16:17]
	v_mul_f64 v[16:17], v[240:241], v[204:205]
	v_fma_f64 v[108:109], v[222:223], v[86:87], -v[88:89]
	v_fma_f64 v[96:97], v[52:53], v[164:165], v[50:51]
	v_mul_f64 v[50:51], v[24:25], v[196:197]
	v_fma_f64 v[86:87], v[38:39], v[190:191], v[22:23]
	v_fma_f64 v[62:63], v[232:233], v[190:191], -v[32:33]
	v_fma_f64 v[88:89], v[24:25], v[194:195], v[36:37]
	v_fma_f64 v[118:119], v[34:35], v[198:199], v[2:3]
	v_fma_f64 v[64:65], v[236:237], v[198:199], -v[28:29]
	v_mul_f64 v[2:3], v[30:31], v[204:205]
	v_mul_f64 v[22:23], v[210:211], v[208:209]
	v_add_f64 v[24:25], v[8:9], v[144:145]
	v_mul_f64 v[28:29], v[14:15], v[208:209]
	v_add_f64 v[32:33], v[140:141], v[142:143]
	v_fma_f64 v[78:79], v[30:31], v[202:203], v[16:17]
	v_mul_f64 v[16:17], v[244:245], v[220:221]
	v_mul_f64 v[30:31], v[26:27], v[220:221]
	v_add_f64 v[34:35], v[144:145], v[146:147]
	v_fma_f64 v[110:111], v[110:111], v[82:83], -v[84:85]
	v_fma_f64 v[66:67], v[240:241], v[202:203], -v[2:3]
	v_fma_f64 v[80:81], v[14:15], v[206:207], v[22:23]
	v_add_f64 v[2:3], v[24:25], v[140:141]
	v_fma_f64 v[70:71], v[210:211], v[206:207], -v[28:29]
	v_fma_f64 v[14:15], v[32:33], -0.5, v[8:9]
	v_add_f64 v[22:23], v[138:139], -v[126:127]
	v_fma_f64 v[84:85], v[26:27], v[218:219], v[16:17]
	v_fma_f64 v[68:69], v[244:245], v[218:219], -v[30:31]
	v_mul_f64 v[16:17], v[106:107], v[216:217]
	v_mul_f64 v[24:25], v[18:19], v[216:217]
	v_add_f64 v[28:29], v[132:133], -v[130:131]
	v_add_f64 v[30:31], v[144:145], -v[140:141]
	v_add_f64 v[32:33], v[146:147], -v[142:143]
	v_fma_f64 v[8:9], v[34:35], -0.5, v[8:9]
	v_fma_f64 v[26:27], v[22:23], s[2:3], v[14:15]
	v_fma_f64 v[14:15], v[22:23], s[10:11], v[14:15]
	;; [unrolled: 1-line block ×3, first 2 shown]
	v_fma_f64 v[92:93], v[106:107], v[214:215], -v[24:25]
	v_add_f64 v[24:25], v[10:11], v[134:135]
	v_add_f64 v[34:35], v[142:143], -v[146:147]
	v_add_f64 v[18:19], v[30:31], v[32:33]
	v_fma_f64 v[30:31], v[28:29], s[10:11], v[8:9]
	v_fma_f64 v[8:9], v[28:29], s[2:3], v[8:9]
	;; [unrolled: 1-line block ×3, first 2 shown]
	v_add_f64 v[26:27], v[124:125], v[128:129]
	v_add_f64 v[32:33], v[140:141], -v[144:145]
	v_add_f64 v[24:25], v[24:25], v[124:125]
	v_fma_f64 v[14:15], v[28:29], s[14:15], v[14:15]
	v_add_f64 v[28:29], v[108:109], -v[114:115]
	v_fma_f64 v[30:31], v[22:23], s[6:7], v[30:31]
	v_fma_f64 v[8:9], v[22:23], s[14:15], v[8:9]
	v_add_f64 v[22:23], v[134:135], v[136:137]
	v_fma_f64 v[26:27], v[26:27], -0.5, v[10:11]
	v_add_f64 v[32:33], v[32:33], v[34:35]
	v_add_f64 v[24:25], v[24:25], v[128:129]
	v_add_f64 v[34:35], v[110:111], -v[112:113]
	v_mul_f64 v[54:55], v[52:53], v[166:167]
	v_fma_f64 v[82:83], v[234:235], v[168:169], -v[58:59]
	v_fma_f64 v[58:59], v[242:243], v[194:195], -v[50:51]
	v_fma_f64 v[10:11], v[22:23], -0.5, v[10:11]
	v_fma_f64 v[16:17], v[18:19], s[4:5], v[16:17]
	v_fma_f64 v[14:15], v[18:19], s[4:5], v[14:15]
	;; [unrolled: 1-line block ×5, first 2 shown]
	v_add_f64 v[22:23], v[24:25], v[136:137]
	v_add_f64 v[24:25], v[134:135], -v[124:125]
	v_add_f64 v[32:33], v[136:137], -v[128:129]
	v_fma_f64 v[26:27], v[28:29], s[10:11], v[26:27]
	v_add_f64 v[36:37], v[4:5], v[116:117]
	v_add_f64 v[38:39], v[94:95], v[96:97]
	v_fma_f64 v[50:51], v[34:35], s[10:11], v[10:11]
	v_fma_f64 v[10:11], v[34:35], s[2:3], v[10:11]
	v_fma_f64 v[76:77], v[228:229], v[164:165], -v[54:55]
	v_add_f64 v[52:53], v[124:125], -v[134:135]
	v_add_f64 v[54:55], v[128:129], -v[136:137]
	v_fma_f64 v[18:19], v[34:35], s[6:7], v[18:19]
	v_add_f64 v[24:25], v[24:25], v[32:33]
	v_fma_f64 v[26:27], v[34:35], s[14:15], v[26:27]
	v_add_f64 v[32:33], v[36:37], v[94:95]
	v_fma_f64 v[34:35], v[38:39], -0.5, v[4:5]
	v_add_f64 v[36:37], v[72:73], -v[82:83]
	v_fma_f64 v[38:39], v[28:29], s[6:7], v[50:51]
	v_fma_f64 v[10:11], v[28:29], s[14:15], v[10:11]
	v_add_f64 v[28:29], v[116:117], v[122:123]
	v_add_f64 v[50:51], v[52:53], v[54:55]
	;; [unrolled: 1-line block ×3, first 2 shown]
	v_fma_f64 v[18:19], v[24:25], s[4:5], v[18:19]
	v_fma_f64 v[24:25], v[24:25], s[4:5], v[26:27]
	v_add_f64 v[26:27], v[32:33], v[96:97]
	v_fma_f64 v[32:33], v[36:37], s[2:3], v[34:35]
	v_add_f64 v[52:53], v[74:75], -v[76:77]
	v_add_f64 v[56:57], v[116:117], -v[94:95]
	;; [unrolled: 1-line block ×3, first 2 shown]
	v_fma_f64 v[4:5], v[28:29], -0.5, v[4:5]
	v_fma_f64 v[34:35], v[36:37], s[10:11], v[34:35]
	v_fma_f64 v[38:39], v[50:51], s[4:5], v[38:39]
	;; [unrolled: 1-line block ×3, first 2 shown]
	v_fma_f64 v[50:51], v[54:55], -0.5, v[6:7]
	v_add_f64 v[54:55], v[60:61], -v[64:65]
	v_fma_f64 v[28:29], v[52:53], s[6:7], v[32:33]
	v_add_f64 v[56:57], v[56:57], v[106:107]
	v_fma_f64 v[106:107], v[52:53], s[10:11], v[4:5]
	v_add_f64 v[160:161], v[94:95], -v[116:117]
	v_add_f64 v[162:163], v[96:97], -v[122:123]
	v_fma_f64 v[4:5], v[52:53], s[2:3], v[4:5]
	v_fma_f64 v[34:35], v[52:53], s[14:15], v[34:35]
	;; [unrolled: 1-line block ×3, first 2 shown]
	v_add_f64 v[166:167], v[62:63], -v[58:59]
	v_add_f64 v[168:169], v[90:91], -v[86:87]
	;; [unrolled: 1-line block ×3, first 2 shown]
	v_add_f64 v[52:53], v[90:91], v[118:119]
	v_fma_f64 v[106:107], v[36:37], s[6:7], v[106:107]
	v_add_f64 v[160:161], v[160:161], v[162:163]
	v_fma_f64 v[4:5], v[36:37], s[14:15], v[4:5]
	v_fma_f64 v[28:29], v[56:57], s[4:5], v[28:29]
	;; [unrolled: 1-line block ×3, first 2 shown]
	v_add_f64 v[56:57], v[80:81], v[84:85]
	v_fma_f64 v[36:37], v[166:167], s[6:7], v[164:165]
	v_add_f64 v[164:165], v[78:79], v[120:121]
	v_add_f64 v[32:33], v[6:7], v[90:91]
	;; [unrolled: 1-line block ×3, first 2 shown]
	v_fma_f64 v[6:7], v[52:53], -0.5, v[6:7]
	v_fma_f64 v[52:53], v[160:161], s[4:5], v[106:107]
	v_fma_f64 v[4:5], v[160:161], s[4:5], v[4:5]
	;; [unrolled: 1-line block ×3, first 2 shown]
	v_add_f64 v[160:161], v[86:87], -v[90:91]
	v_add_f64 v[168:169], v[88:89], -v[118:119]
	v_add_f64 v[170:171], v[0:1], v[78:79]
	v_fma_f64 v[56:57], v[56:57], -0.5, v[0:1]
	v_add_f64 v[172:173], v[66:67], -v[92:93]
	v_add_f64 v[186:187], v[70:71], -v[68:69]
	v_fma_f64 v[0:1], v[164:165], -0.5, v[0:1]
	v_add_f64 v[32:33], v[32:33], v[86:87]
	v_fma_f64 v[106:107], v[166:167], s[10:11], v[6:7]
	v_fma_f64 v[50:51], v[166:167], s[14:15], v[50:51]
	v_add_f64 v[160:161], v[160:161], v[168:169]
	v_fma_f64 v[6:7], v[166:167], s[2:3], v[6:7]
	v_add_f64 v[164:165], v[170:171], v[80:81]
	v_fma_f64 v[166:167], v[172:173], s[2:3], v[56:57]
	v_add_f64 v[168:169], v[78:79], -v[80:81]
	v_add_f64 v[170:171], v[120:121], -v[84:85]
	v_fma_f64 v[56:57], v[172:173], s[10:11], v[56:57]
	v_fma_f64 v[188:189], v[186:187], s[10:11], v[0:1]
	v_add_f64 v[190:191], v[80:81], -v[78:79]
	v_add_f64 v[192:193], v[84:85], -v[120:121]
	v_fma_f64 v[0:1], v[186:187], s[2:3], v[0:1]
	v_add_f64 v[2:3], v[2:3], v[142:143]
	v_add_f64 v[32:33], v[32:33], v[88:89]
	v_fma_f64 v[106:107], v[54:55], s[6:7], v[106:107]
	v_fma_f64 v[6:7], v[54:55], s[14:15], v[6:7]
	v_add_f64 v[54:55], v[164:165], v[84:85]
	v_fma_f64 v[164:165], v[186:187], s[6:7], v[166:167]
	v_add_f64 v[166:167], v[168:169], v[170:171]
	v_fma_f64 v[56:57], v[186:187], s[14:15], v[56:57]
	v_fma_f64 v[168:169], v[172:173], s[6:7], v[188:189]
	v_add_f64 v[170:171], v[190:191], v[192:193]
	v_fma_f64 v[0:1], v[172:173], s[14:15], v[0:1]
	v_add_f64 v[2:3], v[2:3], v[146:147]
	v_add_f64 v[26:27], v[26:27], v[122:123]
	;; [unrolled: 1-line block ×3, first 2 shown]
	v_fma_f64 v[36:37], v[162:163], s[4:5], v[36:37]
	v_fma_f64 v[50:51], v[162:163], s[4:5], v[50:51]
	;; [unrolled: 1-line block ×4, first 2 shown]
	v_add_f64 v[54:55], v[54:55], v[120:121]
	v_fma_f64 v[164:165], v[166:167], s[4:5], v[164:165]
	v_mov_b32_e32 v161, 3
	v_fma_f64 v[106:107], v[166:167], s[4:5], v[56:57]
	v_fma_f64 v[56:57], v[170:171], s[4:5], v[168:169]
	;; [unrolled: 1-line block ×3, first 2 shown]
	v_lshlrev_b32_sdwa v13, v161, v13 dst_sel:DWORD dst_unused:UNUSED_PAD src0_sel:DWORD src1_sel:BYTE_0
	v_add3_u32 v160, 0, v12, v13
	ds_write2_b64 v160, v[2:3], v[16:17] offset1:30
	ds_write2_b64 v160, v[30:31], v[8:9] offset0:60 offset1:90
	ds_write_b64 v160, v[14:15] offset:960
	v_mul_u32_u24_e32 v2, 0x4b0, v156
	v_lshlrev_b32_sdwa v3, v161, v157 dst_sel:DWORD dst_unused:UNUSED_PAD src0_sel:DWORD src1_sel:BYTE_0
	v_add3_u32 v156, 0, v2, v3
	v_mul_u32_u24_e32 v2, 0x4b0, v158
	v_lshlrev_b32_e32 v3, 3, v159
	v_add3_u32 v157, 0, v2, v3
	v_mul_u32_u24_e32 v2, 0x4b0, v250
	v_lshlrev_b32_e32 v3, 3, v251
	;; [unrolled: 3-line block ×3, first 2 shown]
	v_add3_u32 v159, 0, v2, v3
	ds_write2_b64 v156, v[22:23], v[18:19] offset1:30
	ds_write2_b64 v156, v[38:39], v[10:11] offset0:60 offset1:90
	ds_write_b64 v156, v[24:25] offset:960
	ds_write2_b64 v157, v[26:27], v[28:29] offset1:30
	ds_write2_b64 v157, v[52:53], v[4:5] offset0:60 offset1:90
	ds_write_b64 v157, v[34:35] offset:960
	;; [unrolled: 3-line block ×4, first 2 shown]
	s_waitcnt lgkmcnt(0)
	s_barrier
	ds_read2_b64 v[12:15], v175 offset1:90
	ds_read2_b64 v[50:53], v155 offset0:110 offset1:200
	v_add_u32_e32 v155, 0x2c00, v175
	ds_read2_b64 v[54:57], v155 offset0:92 offset1:182
	ds_read2_b64 v[8:11], v41 offset0:52 offset1:142
	;; [unrolled: 1-line block ×10, first 2 shown]
	v_lshl_add_u32 v148, v174, 3, 0
	s_and_saveexec_b64 s[16:17], vcc
	s_cbranch_execz .LBB0_27
; %bb.26:
	ds_read_b64 v[100:101], v175 offset:11760
	ds_read_b64 v[106:107], v148 offset:5760
	;; [unrolled: 1-line block ×3, first 2 shown]
.LBB0_27:
	s_or_b64 exec, exec, s[16:17]
	v_add_f64 v[149:150], v[132:133], v[130:131]
	v_add_f64 v[144:145], v[144:145], -v[146:147]
	v_add_f64 v[146:147], v[138:139], v[126:127]
	v_add_f64 v[151:152], v[46:47], v[138:139]
	v_add_f64 v[140:141], v[140:141], -v[142:143]
	v_add_f64 v[142:143], v[138:139], -v[132:133]
	;; [unrolled: 1-line block ×3, first 2 shown]
	v_add_f64 v[163:164], v[48:49], v[108:109]
	v_fma_f64 v[149:150], v[149:150], -0.5, v[46:47]
	v_add_f64 v[138:139], v[132:133], -v[138:139]
	v_fma_f64 v[46:47], v[146:147], -0.5, v[46:47]
	v_add_f64 v[161:162], v[130:131], -v[126:127]
	v_add_f64 v[146:147], v[110:111], v[112:113]
	v_add_f64 v[134:135], v[134:135], -v[136:137]
	v_add_f64 v[132:133], v[151:152], v[132:133]
	v_add_f64 v[142:143], v[142:143], v[153:154]
	v_fma_f64 v[136:137], v[144:145], s[10:11], v[149:150]
	v_fma_f64 v[149:150], v[144:145], s[2:3], v[149:150]
	;; [unrolled: 1-line block ×4, first 2 shown]
	v_add_f64 v[163:164], v[163:164], v[110:111]
	v_add_f64 v[151:152], v[108:109], v[114:115]
	;; [unrolled: 1-line block ×4, first 2 shown]
	v_fma_f64 v[132:133], v[140:141], s[14:15], v[136:137]
	v_fma_f64 v[136:137], v[140:141], s[6:7], v[149:150]
	v_fma_f64 v[140:141], v[146:147], -0.5, v[48:49]
	v_fma_f64 v[146:147], v[144:145], s[14:15], v[153:154]
	v_fma_f64 v[46:47], v[144:145], s[6:7], v[46:47]
	v_add_f64 v[144:145], v[163:164], v[112:113]
	v_add_f64 v[126:127], v[130:131], v[126:127]
	v_add_f64 v[124:125], v[124:125], -v[128:129]
	v_fma_f64 v[130:131], v[142:143], s[4:5], v[132:133]
	v_fma_f64 v[132:133], v[142:143], s[4:5], v[136:137]
	;; [unrolled: 1-line block ×5, first 2 shown]
	v_fma_f64 v[48:49], v[151:152], -0.5, v[48:49]
	v_add_f64 v[138:139], v[144:145], v[114:115]
	v_add_f64 v[142:143], v[108:109], -v[110:111]
	v_add_f64 v[144:145], v[114:115], -v[112:113]
	v_fma_f64 v[140:141], v[134:135], s[2:3], v[140:141]
	v_add_f64 v[146:147], v[42:43], v[72:73]
	v_fma_f64 v[136:137], v[124:125], s[14:15], v[136:137]
	v_add_f64 v[108:109], v[110:111], -v[108:109]
	v_fma_f64 v[151:152], v[124:125], s[2:3], v[48:49]
	v_add_f64 v[110:111], v[112:113], -v[114:115]
	v_fma_f64 v[48:49], v[124:125], s[10:11], v[48:49]
	v_add_f64 v[112:113], v[142:143], v[144:145]
	v_fma_f64 v[114:115], v[124:125], s[6:7], v[140:141]
	v_add_f64 v[124:125], v[146:147], v[74:75]
	v_add_f64 v[149:150], v[74:75], v[76:77]
	v_add_f64 v[116:117], v[116:117], -v[122:123]
	v_fma_f64 v[122:123], v[134:135], s[14:15], v[151:152]
	v_add_f64 v[108:109], v[108:109], v[110:111]
	v_add_f64 v[94:95], v[94:95], -v[96:97]
	v_fma_f64 v[110:111], v[112:113], s[4:5], v[136:137]
	v_fma_f64 v[112:113], v[112:113], s[4:5], v[114:115]
	v_add_f64 v[114:115], v[124:125], v[76:77]
	v_add_f64 v[124:125], v[72:73], v[82:83]
	v_fma_f64 v[140:141], v[149:150], -0.5, v[42:43]
	v_add_f64 v[136:137], v[72:73], -v[74:75]
	v_add_f64 v[142:143], v[82:83], -v[76:77]
	v_fma_f64 v[48:49], v[134:135], s[6:7], v[48:49]
	v_fma_f64 v[96:97], v[108:109], s[4:5], v[122:123]
	v_add_f64 v[122:123], v[62:63], v[58:59]
	v_add_f64 v[90:91], v[90:91], -v[118:119]
	v_fma_f64 v[42:43], v[124:125], -0.5, v[42:43]
	v_add_f64 v[124:125], v[44:45], v[60:61]
	v_fma_f64 v[134:135], v[116:117], s[10:11], v[140:141]
	v_add_f64 v[118:119], v[136:137], v[142:143]
	v_add_f64 v[72:73], v[74:75], -v[72:73]
	v_add_f64 v[74:75], v[76:77], -v[82:83]
	v_fma_f64 v[48:49], v[108:109], s[4:5], v[48:49]
	v_fma_f64 v[122:123], v[122:123], -0.5, v[44:45]
	v_fma_f64 v[136:137], v[94:95], s[2:3], v[42:43]
	v_fma_f64 v[42:43], v[94:95], s[10:11], v[42:43]
	v_add_f64 v[76:77], v[124:125], v[62:63]
	v_fma_f64 v[108:109], v[94:95], s[14:15], v[134:135]
	v_fma_f64 v[134:135], v[116:117], s[2:3], v[140:141]
	v_add_f64 v[72:73], v[72:73], v[74:75]
	v_add_f64 v[114:115], v[114:115], v[82:83]
	v_fma_f64 v[82:83], v[90:91], s[10:11], v[122:123]
	v_fma_f64 v[136:137], v[116:117], s[14:15], v[136:137]
	;; [unrolled: 1-line block ×3, first 2 shown]
	v_add_f64 v[74:75], v[76:77], v[58:59]
	v_add_f64 v[86:87], v[86:87], -v[88:89]
	v_add_f64 v[88:89], v[60:61], -v[62:63]
	;; [unrolled: 1-line block ×3, first 2 shown]
	v_fma_f64 v[94:95], v[94:95], s[6:7], v[134:135]
	v_add_f64 v[134:135], v[60:61], v[64:65]
	v_fma_f64 v[116:117], v[72:73], s[4:5], v[136:137]
	v_fma_f64 v[42:43], v[72:73], s[4:5], v[42:43]
	v_add_f64 v[72:73], v[74:75], v[64:65]
	v_add_f64 v[74:75], v[70:71], v[68:69]
	v_add_f64 v[60:61], v[62:63], -v[60:61]
	v_add_f64 v[62:63], v[66:67], v[92:93]
	v_fma_f64 v[76:77], v[86:87], s[14:15], v[82:83]
	v_add_f64 v[82:83], v[88:89], v[124:125]
	v_fma_f64 v[88:89], v[118:119], s[4:5], v[108:109]
	v_fma_f64 v[44:45], v[134:135], -0.5, v[44:45]
	v_fma_f64 v[108:109], v[90:91], s[2:3], v[122:123]
	v_add_f64 v[58:59], v[58:59], -v[64:65]
	v_add_f64 v[64:65], v[20:21], v[66:67]
	v_fma_f64 v[74:75], v[74:75], -0.5, v[20:21]
	v_add_f64 v[80:81], v[80:81], -v[84:85]
	v_fma_f64 v[20:21], v[62:63], -0.5, v[20:21]
	v_add_f64 v[78:79], v[78:79], -v[120:121]
	v_fma_f64 v[94:95], v[118:119], s[4:5], v[94:95]
	v_fma_f64 v[118:119], v[86:87], s[2:3], v[44:45]
	;; [unrolled: 1-line block ×3, first 2 shown]
	v_add_f64 v[58:59], v[60:61], v[58:59]
	v_fma_f64 v[44:45], v[86:87], s[10:11], v[44:45]
	v_add_f64 v[60:61], v[64:65], v[70:71]
	v_add_f64 v[64:65], v[66:67], -v[70:71]
	v_fma_f64 v[86:87], v[80:81], s[2:3], v[20:21]
	v_add_f64 v[66:67], v[70:71], -v[66:67]
	v_add_f64 v[70:71], v[68:69], -v[92:93]
	v_fma_f64 v[20:21], v[80:81], s[10:11], v[20:21]
	v_fma_f64 v[62:63], v[78:79], s[10:11], v[74:75]
	v_add_f64 v[84:85], v[92:93], -v[68:69]
	v_fma_f64 v[74:75], v[78:79], s[2:3], v[74:75]
	v_fma_f64 v[118:119], v[90:91], s[14:15], v[118:119]
	;; [unrolled: 1-line block ×3, first 2 shown]
	v_add_f64 v[60:61], v[60:61], v[68:69]
	v_add_f64 v[66:67], v[66:67], v[70:71]
	v_fma_f64 v[20:21], v[78:79], s[6:7], v[20:21]
	v_fma_f64 v[62:63], v[80:81], s[14:15], v[62:63]
	v_add_f64 v[64:65], v[64:65], v[84:85]
	v_fma_f64 v[68:69], v[80:81], s[6:7], v[74:75]
	v_fma_f64 v[74:75], v[78:79], s[14:15], v[86:87]
	;; [unrolled: 1-line block ×7, first 2 shown]
	v_add_f64 v[58:59], v[60:61], v[92:93]
	v_fma_f64 v[60:61], v[64:65], s[4:5], v[62:63]
	v_fma_f64 v[108:109], v[64:65], s[4:5], v[68:69]
	;; [unrolled: 1-line block ×3, first 2 shown]
	s_waitcnt lgkmcnt(0)
	s_barrier
	ds_write2_b64 v160, v[126:127], v[130:131] offset1:30
	ds_write2_b64 v160, v[128:129], v[46:47] offset0:60 offset1:90
	ds_write_b64 v160, v[132:133] offset:960
	ds_write2_b64 v156, v[138:139], v[110:111] offset1:30
	ds_write2_b64 v156, v[96:97], v[48:49] offset0:60 offset1:90
	ds_write_b64 v156, v[112:113] offset:960
	;; [unrolled: 3-line block ×5, first 2 shown]
	v_add_u32_e32 v20, 0x1400, v175
	s_waitcnt lgkmcnt(0)
	s_barrier
	ds_read2_b64 v[62:65], v175 offset1:90
	ds_read2_b64 v[94:97], v20 offset0:110 offset1:200
	ds_read2_b64 v[90:93], v155 offset0:92 offset1:182
	v_add_u32_e32 v20, 0x400, v175
	ds_read2_b64 v[58:61], v20 offset0:52 offset1:142
	v_add_u32_e32 v20, 0x1800, v175
	;; [unrolled: 2-line block ×9, first 2 shown]
	ds_read2_b64 v[66:69], v20 offset0:120 offset1:210
	s_and_saveexec_b64 s[2:3], vcc
	s_cbranch_execz .LBB0_29
; %bb.28:
	ds_read_b64 v[104:105], v175 offset:11760
	ds_read_b64 v[108:109], v148 offset:5760
	;; [unrolled: 1-line block ×3, first 2 shown]
.LBB0_29:
	s_or_b64 exec, exec, s[2:3]
	v_lshlrev_b32_e32 v20, 1, v174
	v_mov_b32_e32 v21, 0
	v_lshlrev_b64 v[110:111], 4, v[20:21]
	v_mov_b32_e32 v124, s9
	v_add_co_u32_e64 v110, s[2:3], s8, v110
	v_addc_co_u32_e64 v111, s[2:3], v124, v111, s[2:3]
	global_load_dwordx4 v[112:115], v[110:111], off offset:2256
	global_load_dwordx4 v[116:119], v[110:111], off offset:2240
	v_subrev_u32_e32 v110, 60, v174
	v_cmp_gt_u32_e64 s[2:3], 60, v174
	v_add_u32_e32 v20, 60, v20
	v_cndmask_b32_e64 v173, v110, v181, s[2:3]
	v_mov_b32_e32 v111, v21
	v_lshlrev_b64 v[20:21], 4, v[20:21]
	v_lshlrev_b32_e32 v110, 1, v173
	v_lshlrev_b64 v[110:111], 4, v[110:111]
	v_add_co_u32_e64 v20, s[2:3], s8, v20
	v_addc_co_u32_e64 v21, s[2:3], v124, v21, s[2:3]
	global_load_dwordx4 v[126:129], v[20:21], off offset:2256
	global_load_dwordx4 v[120:123], v[20:21], off offset:2240
	v_add_co_u32_e64 v20, s[2:3], s8, v110
	v_addc_co_u32_e64 v21, s[2:3], v124, v111, s[2:3]
	global_load_dwordx4 v[130:133], v[20:21], off offset:2240
	global_load_dwordx4 v[134:137], v[20:21], off offset:2256
	v_lshrrev_b16_e32 v20, 1, v179
	v_mul_u32_u24_e32 v20, 0xda75, v20
	v_lshrrev_b32_e32 v204, 22, v20
	v_mul_lo_u16_e32 v20, 0x96, v204
	v_sub_u16_e32 v205, v179, v20
	v_lshlrev_b32_e32 v20, 5, v205
	global_load_dwordx4 v[138:141], v20, s[8:9] offset:2240
	global_load_dwordx4 v[142:145], v20, s[8:9] offset:2256
	v_lshrrev_b16_e32 v20, 1, v180
	v_mul_u32_u24_e32 v20, 0xda75, v20
	v_lshrrev_b32_e32 v20, 22, v20
	v_mul_lo_u16_e32 v20, 0x96, v20
	v_sub_u16_e32 v206, v180, v20
	v_lshlrev_b32_e32 v20, 5, v206
	global_load_dwordx4 v[149:152], v20, s[8:9] offset:2256
	global_load_dwordx4 v[153:156], v20, s[8:9] offset:2240
	;; [unrolled: 8-line block ×6, first 2 shown]
	s_mov_b32 s4, 0xe8584caa
	s_mov_b32 s5, 0xbfebb67a
	;; [unrolled: 1-line block ×4, first 2 shown]
	s_waitcnt vmcnt(0) lgkmcnt(0)
	s_barrier
	v_cmp_lt_u32_e64 s[2:3], 59, v174
	v_mul_f64 v[124:125], v[90:91], v[114:115]
	v_mul_f64 v[20:21], v[94:95], v[118:119]
	;; [unrolled: 1-line block ×4, first 2 shown]
	v_fma_f64 v[110:111], v[50:51], v[116:117], v[20:21]
	v_fma_f64 v[116:117], v[94:95], v[116:117], -v[118:119]
	v_fma_f64 v[118:119], v[54:55], v[112:113], v[124:125]
	v_fma_f64 v[90:91], v[90:91], v[112:113], -v[114:115]
	v_mul_f64 v[200:201], v[82:83], v[128:129]
	v_mul_f64 v[146:147], v[86:87], v[122:123]
	;; [unrolled: 1-line block ×7, first 2 shown]
	v_fma_f64 v[112:113], v[34:35], v[126:127], v[200:201]
	v_mul_f64 v[136:137], v[56:57], v[136:137]
	v_mul_f64 v[50:51], v[88:89], v[140:141]
	v_fma_f64 v[114:115], v[52:53], v[130:131], v[122:123]
	v_mul_f64 v[52:53], v[40:41], v[140:141]
	v_mul_f64 v[34:35], v[84:85], v[144:145]
	v_fma_f64 v[124:125], v[96:97], v[130:131], -v[132:133]
	v_fma_f64 v[96:97], v[38:39], v[120:121], v[146:147]
	v_fma_f64 v[120:121], v[86:87], v[120:121], -v[198:199]
	v_fma_f64 v[38:39], v[82:83], v[126:127], -v[20:21]
	v_mul_f64 v[20:21], v[36:37], v[144:145]
	v_fma_f64 v[40:41], v[40:41], v[138:139], v[50:51]
	v_fma_f64 v[86:87], v[88:89], v[138:139], -v[52:53]
	v_fma_f64 v[88:89], v[36:37], v[142:143], v[34:35]
	v_mul_f64 v[34:35], v[26:27], v[151:152]
	v_mul_f64 v[50:51], v[78:79], v[155:156]
	;; [unrolled: 1-line block ×5, first 2 shown]
	v_fma_f64 v[122:123], v[56:57], v[134:135], v[202:203]
	v_fma_f64 v[82:83], v[84:85], v[142:143], -v[20:21]
	v_mul_f64 v[126:127], v[32:33], v[159:160]
	v_fma_f64 v[56:57], v[74:75], v[149:150], -v[34:35]
	v_fma_f64 v[84:85], v[30:31], v[153:154], v[50:51]
	v_fma_f64 v[20:21], v[32:33], v[157:158], v[36:37]
	v_mul_f64 v[34:35], v[70:71], v[171:172]
	v_mul_f64 v[36:37], v[22:23], v[171:172]
	v_fma_f64 v[94:95], v[78:79], v[153:154], -v[52:53]
	v_fma_f64 v[78:79], v[26:27], v[149:150], v[54:55]
	v_mul_f64 v[26:27], v[76:77], v[163:164]
	v_mul_f64 v[74:75], v[24:25], v[188:189]
	;; [unrolled: 1-line block ×6, first 2 shown]
	v_fma_f64 v[22:23], v[22:23], v[169:170], v[34:35]
	v_fma_f64 v[34:35], v[70:71], v[169:170], -v[36:37]
	v_fma_f64 v[28:29], v[28:29], v[161:162], v[26:27]
	v_fma_f64 v[36:37], v[72:73], v[186:187], -v[74:75]
	v_add_f64 v[72:73], v[110:111], v[118:119]
	v_fma_f64 v[26:27], v[76:77], v[161:162], -v[32:33]
	v_fma_f64 v[32:33], v[16:17], v[165:166], v[50:51]
	v_mul_f64 v[50:51], v[68:69], v[192:193]
	v_fma_f64 v[24:25], v[24:25], v[186:187], v[54:55]
	v_mul_f64 v[54:55], v[104:105], v[184:185]
	v_mul_f64 v[70:71], v[100:101], v[184:185]
	v_fma_f64 v[92:93], v[92:93], v[134:135], -v[136:137]
	v_fma_f64 v[30:31], v[80:81], v[157:158], -v[126:127]
	;; [unrolled: 1-line block ×3, first 2 shown]
	v_mul_f64 v[52:53], v[18:19], v[192:193]
	v_mul_f64 v[74:75], v[102:103], v[196:197]
	;; [unrolled: 1-line block ×3, first 2 shown]
	v_add_f64 v[80:81], v[12:13], v[110:111]
	v_fma_f64 v[12:13], v[72:73], -0.5, v[12:13]
	v_add_f64 v[72:73], v[114:115], v[122:123]
	v_fma_f64 v[66:67], v[18:19], v[190:191], v[50:51]
	v_fma_f64 v[50:51], v[100:101], v[182:183], v[54:55]
	v_fma_f64 v[54:55], v[104:105], v[182:183], -v[70:71]
	v_add_f64 v[70:71], v[116:117], -v[90:91]
	v_fma_f64 v[18:19], v[68:69], v[190:191], -v[52:53]
	v_fma_f64 v[68:69], v[98:99], v[194:195], v[74:75]
	v_fma_f64 v[52:53], v[102:103], v[194:195], -v[76:77]
	v_add_f64 v[76:77], v[14:15], v[114:115]
	v_add_f64 v[98:99], v[96:97], v[112:113]
	v_fma_f64 v[14:15], v[72:73], -0.5, v[14:15]
	v_add_f64 v[72:73], v[124:125], -v[92:93]
	v_add_f64 v[74:75], v[80:81], v[118:119]
	v_fma_f64 v[80:81], v[70:71], s[4:5], v[12:13]
	v_fma_f64 v[12:13], v[70:71], s[6:7], v[12:13]
	v_add_f64 v[70:71], v[40:41], v[88:89]
	v_add_f64 v[104:105], v[84:85], v[78:79]
	;; [unrolled: 1-line block ×3, first 2 shown]
	v_fma_f64 v[8:9], v[98:99], -0.5, v[8:9]
	v_add_f64 v[98:99], v[120:121], -v[38:39]
	v_fma_f64 v[102:103], v[72:73], s[4:5], v[14:15]
	v_fma_f64 v[14:15], v[72:73], s[6:7], v[14:15]
	v_add_f64 v[72:73], v[10:11], v[40:41]
	v_fma_f64 v[10:11], v[70:71], -0.5, v[10:11]
	v_add_f64 v[70:71], v[86:87], -v[82:83]
	v_add_f64 v[128:129], v[4:5], v[84:85]
	v_fma_f64 v[4:5], v[104:105], -0.5, v[4:5]
	v_add_f64 v[104:105], v[94:95], -v[56:57]
	v_fma_f64 v[126:127], v[98:99], s[4:5], v[8:9]
	v_fma_f64 v[8:9], v[98:99], s[6:7], v[8:9]
	v_add_f64 v[98:99], v[72:73], v[88:89]
	v_add_f64 v[72:73], v[20:21], v[28:29]
	v_fma_f64 v[130:131], v[70:71], s[4:5], v[10:11]
	v_fma_f64 v[10:11], v[70:71], s[6:7], v[10:11]
	v_add_f64 v[70:71], v[22:23], v[32:33]
	v_fma_f64 v[132:133], v[104:105], s[4:5], v[4:5]
	v_fma_f64 v[4:5], v[104:105], s[6:7], v[4:5]
	v_add_f64 v[104:105], v[24:25], v[66:67]
	v_add_f64 v[134:135], v[6:7], v[20:21]
	v_fma_f64 v[6:7], v[72:73], -0.5, v[6:7]
	v_add_f64 v[72:73], v[30:31], -v[26:27]
	v_add_f64 v[136:137], v[0:1], v[22:23]
	v_fma_f64 v[0:1], v[70:71], -0.5, v[0:1]
	v_add_f64 v[70:71], v[34:35], -v[16:17]
	;; [unrolled: 3-line block ×3, first 2 shown]
	v_add_f64 v[76:77], v[76:77], v[122:123]
	v_add_f64 v[100:101], v[100:101], v[112:113]
	;; [unrolled: 1-line block ×4, first 2 shown]
	v_fma_f64 v[140:141], v[72:73], s[4:5], v[6:7]
	v_fma_f64 v[6:7], v[72:73], s[6:7], v[6:7]
	v_add_f64 v[136:137], v[136:137], v[32:33]
	v_fma_f64 v[142:143], v[70:71], s[4:5], v[0:1]
	ds_write2_b64 v175, v[74:75], v[80:81] offset1:150
	ds_write_b64 v175, v[12:13] offset:2400
	v_mov_b32_e32 v12, 0xe10
	v_fma_f64 v[0:1], v[70:71], s[6:7], v[0:1]
	v_add_f64 v[138:139], v[138:139], v[66:67]
	v_fma_f64 v[144:145], v[104:105], s[4:5], v[2:3]
	v_cndmask_b32_e64 v12, 0, v12, s[2:3]
	v_lshlrev_b32_e32 v13, 3, v173
	v_fma_f64 v[2:3], v[104:105], s[6:7], v[2:3]
	v_add3_u32 v71, 0, v12, v13
	v_add_u32_e32 v72, 0xc00, v148
	ds_write2_b64 v71, v[76:77], v[102:103] offset1:150
	ds_write_b64 v71, v[14:15] offset:2400
	ds_write2_b64 v72, v[100:101], v[126:127] offset0:96 offset1:246
	ds_write_b64 v148, v[8:9] offset:6240
	v_mul_u32_u24_e32 v8, 0xe10, v204
	v_lshlrev_b32_e32 v9, 3, v205
	v_lshl_add_u32 v74, v206, 3, 0
	v_add3_u32 v73, 0, v8, v9
	v_add_u32_e32 v76, 0x1c00, v74
	v_lshl_add_u32 v75, v207, 3, 0
	ds_write2_b64 v73, v[98:99], v[130:131] offset1:150
	ds_write_b64 v73, v[10:11] offset:2400
	ds_write2_b64 v76, v[128:129], v[132:133] offset0:4 offset1:154
	ds_write_b64 v74, v[4:5] offset:9600
	v_add_u32_e32 v4, 0x2800, v75
	ds_write2_b64 v4, v[134:135], v[140:141] offset0:70 offset1:220
	ds_write_b64 v75, v[6:7] offset:13200
	v_mul_u32_u24_e32 v4, 0xe10, v208
	v_lshlrev_b32_e32 v5, 3, v209
	v_add3_u32 v77, 0, v4, v5
	v_lshl_add_u32 v80, v210, 3, 0
	ds_write2_b64 v77, v[136:137], v[142:143] offset1:150
	ds_write_b64 v77, v[0:1] offset:2400
	v_add_u32_e32 v0, 0x3800, v80
	v_lshl_add_u32 v70, v211, 3, 0
	ds_write2_b64 v0, v[138:139], v[144:145] offset0:8 offset1:158
	ds_write_b64 v80, v[2:3] offset:16800
	s_and_saveexec_b64 s[2:3], vcc
	s_cbranch_execz .LBB0_31
; %bb.30:
	v_add_f64 v[0:1], v[50:51], v[68:69]
	v_add_f64 v[2:3], v[54:55], -v[52:53]
	v_add_f64 v[4:5], v[106:107], v[50:51]
	v_fma_f64 v[0:1], v[0:1], -0.5, v[106:107]
	v_add_f64 v[4:5], v[4:5], v[68:69]
	v_fma_f64 v[6:7], v[2:3], s[4:5], v[0:1]
	v_fma_f64 v[0:1], v[2:3], s[6:7], v[0:1]
	v_add_u32_e32 v2, 0x3800, v70
	ds_write2_b64 v2, v[4:5], v[6:7] offset0:8 offset1:158
	ds_write_b64 v70, v[0:1] offset:16800
.LBB0_31:
	s_or_b64 exec, exec, s[2:3]
	v_add_f64 v[0:1], v[116:117], v[90:91]
	v_add_f64 v[2:3], v[124:125], v[92:93]
	v_add_f64 v[6:7], v[110:111], -v[118:119]
	v_add_f64 v[4:5], v[62:63], v[116:117]
	v_add_f64 v[10:11], v[114:115], -v[122:123]
	v_add_f64 v[12:13], v[120:121], v[38:39]
	v_add_f64 v[8:9], v[64:65], v[124:125]
	;; [unrolled: 1-line block ×3, first 2 shown]
	v_fma_f64 v[0:1], v[0:1], -0.5, v[62:63]
	v_fma_f64 v[2:3], v[2:3], -0.5, v[64:65]
	v_add_f64 v[62:63], v[96:97], -v[112:113]
	v_add_f64 v[64:65], v[86:87], v[82:83]
	v_add_f64 v[90:91], v[4:5], v[90:91]
	v_fma_f64 v[4:5], v[12:13], -0.5, v[58:59]
	v_add_f64 v[12:13], v[84:85], -v[78:79]
	v_add_f64 v[92:93], v[8:9], v[92:93]
	v_fma_f64 v[96:97], v[6:7], s[6:7], v[0:1]
	v_fma_f64 v[98:99], v[6:7], s[4:5], v[0:1]
	v_add_f64 v[0:1], v[94:95], v[56:57]
	v_fma_f64 v[100:101], v[10:11], s[6:7], v[2:3]
	v_fma_f64 v[102:103], v[10:11], s[4:5], v[2:3]
	v_add_f64 v[2:3], v[60:61], v[86:87]
	v_fma_f64 v[6:7], v[64:65], -0.5, v[60:61]
	v_add_f64 v[8:9], v[40:41], -v[88:89]
	v_fma_f64 v[86:87], v[62:63], s[6:7], v[4:5]
	v_add_f64 v[10:11], v[42:43], v[94:95]
	v_fma_f64 v[0:1], v[0:1], -0.5, v[42:43]
	v_fma_f64 v[42:43], v[62:63], s[4:5], v[4:5]
	v_add_f64 v[4:5], v[34:35], v[16:17]
	v_add_f64 v[62:63], v[2:3], v[82:83]
	;; [unrolled: 1-line block ×3, first 2 shown]
	v_fma_f64 v[78:79], v[8:9], s[6:7], v[6:7]
	v_fma_f64 v[81:82], v[8:9], s[4:5], v[6:7]
	v_add_f64 v[6:7], v[44:45], v[30:31]
	v_fma_f64 v[88:89], v[12:13], s[6:7], v[0:1]
	v_fma_f64 v[94:95], v[12:13], s[4:5], v[0:1]
	v_add_f64 v[0:1], v[36:37], v[18:19]
	v_add_f64 v[8:9], v[20:21], -v[28:29]
	v_fma_f64 v[2:3], v[2:3], -0.5, v[44:45]
	v_add_f64 v[60:61], v[14:15], v[38:39]
	v_add_f64 v[14:15], v[48:49], v[36:37]
	v_add_f64 v[20:21], v[24:25], -v[66:67]
	v_add_f64 v[83:84], v[10:11], v[56:57]
	v_add_f64 v[10:11], v[46:47], v[34:35]
	v_fma_f64 v[0:1], v[0:1], -0.5, v[48:49]
	v_fma_f64 v[4:5], v[4:5], -0.5, v[46:47]
	v_add_f64 v[12:13], v[22:23], -v[32:33]
	v_add_f64 v[44:45], v[6:7], v[26:27]
	v_fma_f64 v[46:47], v[8:9], s[6:7], v[2:3]
	v_add_u32_e32 v28, 0x400, v175
	v_fma_f64 v[48:49], v[8:9], s[4:5], v[2:3]
	v_add_f64 v[112:113], v[14:15], v[18:19]
	v_fma_f64 v[114:115], v[20:21], s[6:7], v[0:1]
	s_waitcnt lgkmcnt(0)
	s_barrier
	v_add_u32_e32 v8, 0x1800, v175
	ds_read2_b64 v[32:35], v28 offset0:52 offset1:142
	v_add_u32_e32 v28, 0x2000, v175
	v_add_f64 v[104:105], v[10:11], v[16:17]
	v_fma_f64 v[106:107], v[12:13], s[6:7], v[4:5]
	v_fma_f64 v[110:111], v[12:13], s[4:5], v[4:5]
	;; [unrolled: 1-line block ×3, first 2 shown]
	ds_read2_b64 v[12:15], v8 offset0:132 offset1:222
	v_add_u32_e32 v8, 0x2400, v175
	ds_read2_b64 v[64:67], v28 offset0:56 offset1:146
	v_add_u32_e32 v28, 0x3c00, v175
	v_add_u32_e32 v4, 0x800, v175
	ds_read2_b64 v[16:19], v8 offset0:108 offset1:198
	v_add_u32_e32 v8, 0x3800, v175
	v_add_u32_e32 v20, 0x1000, v175
	;; [unrolled: 1-line block ×3, first 2 shown]
	ds_read2_b64 v[56:59], v28 offset0:60 offset1:150
	v_add_u32_e32 v28, 0x1400, v175
	v_add_u32_e32 v36, 0x3000, v175
	ds_read2_b64 v[0:3], v175 offset1:90
	ds_read2_b64 v[4:7], v4 offset0:104 offset1:194
	ds_read2_b64 v[8:11], v8 offset0:8 offset1:98
	;; [unrolled: 1-line block ×6, first 2 shown]
	ds_read_b64 v[40:41], v175 offset:17280
	s_waitcnt lgkmcnt(0)
	s_barrier
	ds_write2_b64 v175, v[90:91], v[96:97] offset1:150
	ds_write_b64 v175, v[98:99] offset:2400
	ds_write2_b64 v71, v[92:93], v[100:101] offset1:150
	ds_write_b64 v71, v[102:103] offset:2400
	ds_write2_b64 v72, v[60:61], v[86:87] offset0:96 offset1:246
	ds_write_b64 v148, v[42:43] offset:6240
	ds_write2_b64 v73, v[62:63], v[78:79] offset1:150
	ds_write_b64 v73, v[81:82] offset:2400
	ds_write2_b64 v76, v[83:84], v[88:89] offset0:4 offset1:154
	ds_write_b64 v74, v[94:95] offset:9600
	v_add_u32_e32 v42, 0x2800, v75
	ds_write2_b64 v42, v[44:45], v[46:47] offset0:70 offset1:220
	ds_write_b64 v75, v[48:49] offset:13200
	ds_write2_b64 v77, v[104:105], v[106:107] offset1:150
	ds_write_b64 v77, v[110:111] offset:2400
	v_add_u32_e32 v42, 0x3800, v80
	ds_write2_b64 v42, v[112:113], v[114:115] offset0:8 offset1:158
	ds_write_b64 v80, v[116:117] offset:16800
	s_and_saveexec_b64 s[2:3], vcc
	s_cbranch_execz .LBB0_33
; %bb.32:
	v_add_f64 v[42:43], v[54:55], v[52:53]
	v_add_f64 v[44:45], v[108:109], v[54:55]
	v_add_f64 v[46:47], v[50:51], -v[68:69]
	s_mov_b32 s5, 0x3febb67a
	s_mov_b32 s4, 0xe8584caa
	v_fma_f64 v[42:43], v[42:43], -0.5, v[108:109]
	v_add_f64 v[44:45], v[44:45], v[52:53]
	v_fma_f64 v[48:49], v[46:47], s[4:5], v[42:43]
	s_mov_b32 s5, 0xbfebb67a
	v_fma_f64 v[42:43], v[46:47], s[4:5], v[42:43]
	v_add_u32_e32 v46, 0x3800, v70
	ds_write2_b64 v46, v[44:45], v[48:49] offset0:8 offset1:158
	ds_write_b64 v70, v[42:43] offset:16800
.LBB0_33:
	s_or_b64 exec, exec, s[2:3]
	s_waitcnt lgkmcnt(0)
	s_barrier
	s_and_saveexec_b64 s[2:3], s[0:1]
	s_cbranch_execz .LBB0_35
; %bb.34:
	v_lshlrev_b32_e32 v82, 2, v180
	v_mov_b32_e32 v83, 0
	v_lshlrev_b64 v[42:43], 4, v[82:83]
	v_lshlrev_b32_e32 v82, 2, v179
	v_lshlrev_b64 v[52:53], 4, v[82:83]
	v_mov_b32_e32 v78, s9
	v_add_co_u32_e32 v42, vcc, s8, v42
	v_add_co_u32_e64 v52, s[0:1], s8, v52
	v_addc_co_u32_e32 v73, vcc, v78, v43, vcc
	s_movk_i32 s15, 0x1b80
	v_addc_co_u32_e64 v53, s[0:1], v78, v53, s[0:1]
	v_add_co_u32_e32 v50, vcc, 0x1b80, v42
	v_add_co_u32_e64 v69, s[0:1], s15, v52
	v_addc_co_u32_e32 v51, vcc, 0, v73, vcc
	s_movk_i32 s9, 0x1000
	v_addc_co_u32_e64 v70, s[0:1], 0, v53, s[0:1]
	v_add_co_u32_e32 v68, vcc, 0x1000, v42
	global_load_dwordx4 v[42:45], v[50:51], off offset:32
	global_load_dwordx4 v[46:49], v[50:51], off offset:16
	v_add_co_u32_e64 v71, s[0:1], s9, v52
	v_addc_co_u32_e64 v72, s[0:1], 0, v53, s[0:1]
	global_load_dwordx4 v[52:55], v[69:70], off offset:32
	global_load_dwordx4 v[60:63], v[69:70], off offset:16
	;; [unrolled: 1-line block ×4, first 2 shown]
	v_addc_co_u32_e32 v69, vcc, 0, v73, vcc
	global_load_dwordx4 v[92:95], v[68:69], off offset:2944
	global_load_dwordx4 v[96:99], v[50:51], off offset:48
	v_add_u32_e32 v68, 0x2400, v175
	v_add_u32_e32 v74, 0x3000, v175
	;; [unrolled: 1-line block ×4, first 2 shown]
	ds_read_b64 v[50:51], v175 offset:17280
	ds_read2_b64 v[70:73], v68 offset0:108 offset1:198
	ds_read2_b64 v[100:103], v69 offset0:80 offset1:170
	;; [unrolled: 1-line block ×4, first 2 shown]
	v_add_u32_e32 v79, 0x2000, v175
	v_add_u32_e32 v80, 0x3c00, v175
	v_lshlrev_b32_e32 v82, 2, v178
	ds_read2_b64 v[108:111], v79 offset0:56 offset1:146
	ds_read2_b64 v[112:115], v80 offset0:60 offset1:150
	v_lshlrev_b64 v[68:69], 4, v[82:83]
	s_mov_b32 s6, 0x134454ff
	s_mov_b32 s7, 0x3fee6f0e
	;; [unrolled: 1-line block ×9, first 2 shown]
	v_add_co_u32_e32 v68, vcc, s8, v68
	s_mov_b32 s1, 0x3fd3c6ef
	v_addc_co_u32_e32 v69, vcc, v78, v69, vcc
	s_movk_i32 s14, 0x3000
	s_movk_i32 s16, 0x2000
	s_waitcnt vmcnt(7)
	v_mul_f64 v[81:82], v[38:39], v[44:45]
	s_waitcnt vmcnt(6)
	v_mul_f64 v[79:80], v[16:17], v[48:49]
	s_waitcnt lgkmcnt(3)
	v_mul_f64 v[44:45], v[106:107], v[44:45]
	v_mul_f64 v[48:49], v[70:71], v[48:49]
	s_waitcnt vmcnt(4)
	v_mul_f64 v[120:121], v[66:67], v[62:63]
	s_waitcnt vmcnt(3)
	;; [unrolled: 2-line block ×3, first 2 shown]
	v_mul_f64 v[118:119], v[58:59], v[90:91]
	s_waitcnt lgkmcnt(1)
	v_mul_f64 v[62:63], v[110:111], v[62:63]
	s_waitcnt vmcnt(1)
	v_mul_f64 v[124:125], v[30:31], v[94:95]
	s_waitcnt vmcnt(0)
	v_mul_f64 v[126:127], v[40:41], v[98:99]
	v_mul_f64 v[94:95], v[102:103], v[94:95]
	;; [unrolled: 1-line block ×3, first 2 shown]
	v_fma_f64 v[70:71], v[46:47], v[70:71], -v[79:80]
	v_fma_f64 v[44:45], v[38:39], v[42:43], v[44:45]
	v_fma_f64 v[38:39], v[42:43], v[106:107], -v[81:82]
	v_fma_f64 v[16:17], v[16:17], v[46:47], v[48:49]
	v_fma_f64 v[42:43], v[92:93], v[102:103], -v[124:125]
	v_fma_f64 v[46:47], v[96:97], v[50:51], -v[126:127]
	v_fma_f64 v[48:49], v[30:31], v[92:93], v[94:95]
	v_fma_f64 v[124:125], v[40:41], v[96:97], v[98:99]
	v_fma_f64 v[106:107], v[84:85], v[100:101], -v[116:117]
	s_waitcnt lgkmcnt(0)
	v_fma_f64 v[128:129], v[88:89], v[114:115], -v[118:119]
	v_add_f64 v[40:41], v[70:71], v[38:39]
	v_add_f64 v[50:51], v[16:17], v[44:45]
	v_add_f64 v[79:80], v[70:71], -v[42:43]
	v_add_f64 v[92:93], v[42:43], v[46:47]
	v_add_f64 v[81:82], v[38:39], -v[46:47]
	v_add_f64 v[94:95], v[48:49], -v[124:125]
	v_add_f64 v[102:103], v[42:43], v[74:75]
	v_add_f64 v[30:31], v[16:17], -v[44:45]
	v_fma_f64 v[40:41], v[40:41], -0.5, v[74:75]
	v_add_f64 v[96:97], v[42:43], -v[70:71]
	v_add_f64 v[132:133], v[42:43], -v[46:47]
	v_fma_f64 v[42:43], v[92:93], -0.5, v[74:75]
	v_add_f64 v[98:99], v[46:47], -v[38:39]
	v_fma_f64 v[136:137], v[50:51], -0.5, v[4:5]
	v_add_f64 v[50:51], v[70:71], v[102:103]
	v_add_f64 v[79:80], v[79:80], v[81:82]
	v_fma_f64 v[81:82], v[94:95], s[10:11], v[40:41]
	v_fma_f64 v[40:41], v[94:95], s[6:7], v[40:41]
	v_add_f64 v[130:131], v[48:49], v[124:125]
	v_fma_f64 v[92:93], v[30:31], s[6:7], v[42:43]
	v_fma_f64 v[42:43], v[30:31], s[10:11], v[42:43]
	v_add_f64 v[126:127], v[70:71], -v[38:39]
	v_add_f64 v[96:97], v[96:97], v[98:99]
	v_add_f64 v[38:39], v[38:39], v[50:51]
	v_fma_f64 v[81:82], v[30:31], s[2:3], v[81:82]
	v_fma_f64 v[40:41], v[30:31], s[4:5], v[40:41]
	v_fma_f64 v[70:71], v[130:131], -0.5, v[4:5]
	v_fma_f64 v[92:93], v[94:95], s[2:3], v[92:93]
	v_fma_f64 v[42:43], v[94:95], s[4:5], v[42:43]
	v_add_f64 v[116:117], v[16:17], -v[48:49]
	v_add_f64 v[118:119], v[44:45], -v[124:125]
	v_add_f64 v[50:51], v[46:47], v[38:39]
	v_fma_f64 v[30:31], v[96:97], s[0:1], v[81:82]
	v_fma_f64 v[46:47], v[96:97], s[0:1], v[40:41]
	v_add_co_u32_e32 v40, vcc, s15, v68
	v_addc_co_u32_e32 v41, vcc, 0, v69, vcc
	v_fma_f64 v[98:99], v[126:127], s[10:11], v[70:71]
	v_fma_f64 v[38:39], v[79:80], s[0:1], v[92:93]
	;; [unrolled: 1-line block ×3, first 2 shown]
	global_load_dwordx4 v[79:82], v[40:41], off offset:32
	global_load_dwordx4 v[92:95], v[40:41], off offset:16
	v_add_co_u32_e32 v68, vcc, s9, v68
	v_addc_co_u32_e32 v69, vcc, 0, v69, vcc
	v_add_f64 v[130:131], v[116:117], v[118:119]
	v_fma_f64 v[138:139], v[132:133], s[4:5], v[98:99]
	global_load_dwordx4 v[96:99], v[68:69], off offset:2944
	global_load_dwordx4 v[116:119], v[40:41], off offset:48
	v_mul_f64 v[122:123], v[104:105], v[54:55]
	v_mul_f64 v[54:55], v[36:37], v[54:55]
	;; [unrolled: 1-line block ×3, first 2 shown]
	v_fma_f64 v[68:69], v[66:67], v[60:61], v[62:63]
	v_mul_f64 v[62:63], v[114:115], v[90:91]
	v_add_f64 v[4:5], v[4:5], v[48:49]
	v_fma_f64 v[60:61], v[60:61], v[110:111], -v[120:121]
	v_add_u32_e32 v66, 0x400, v175
	v_fma_f64 v[122:123], v[36:37], v[52:53], v[122:123]
	v_add_f64 v[36:37], v[106:107], v[128:129]
	v_fma_f64 v[52:53], v[52:53], v[104:105], -v[54:55]
	ds_read2_b64 v[100:103], v66 offset0:52 offset1:142
	v_add_f64 v[134:135], v[48:49], -v[16:17]
	v_add_f64 v[74:75], v[124:125], -v[44:45]
	v_fma_f64 v[84:85], v[28:29], v[84:85], v[40:41]
	v_fma_f64 v[40:41], v[132:133], s[10:11], v[136:137]
	v_fma_f64 v[70:71], v[126:127], s[6:7], v[70:71]
	v_add_f64 v[66:67], v[68:69], -v[122:123]
	s_waitcnt lgkmcnt(0)
	v_fma_f64 v[48:49], v[36:37], -0.5, v[102:103]
	v_fma_f64 v[114:115], v[58:59], v[88:89], v[62:63]
	v_add_f64 v[4:5], v[16:17], v[4:5]
	v_add_f64 v[16:17], v[60:61], -v[106:107]
	v_add_f64 v[58:59], v[52:53], -v[128:129]
	v_add_f64 v[54:55], v[134:135], v[74:75]
	v_fma_f64 v[86:87], v[126:127], s[2:3], v[40:41]
	v_fma_f64 v[70:71], v[132:133], s[2:3], v[70:71]
	;; [unrolled: 1-line block ×4, first 2 shown]
	v_add_f64 v[74:75], v[84:85], -v[114:115]
	v_add_f64 v[4:5], v[4:5], v[44:45]
	v_add_f64 v[16:17], v[16:17], v[58:59]
	;; [unrolled: 1-line block ×3, first 2 shown]
	v_fma_f64 v[44:45], v[54:55], s[0:1], v[86:87]
	v_add_f64 v[86:87], v[84:85], v[114:115]
	v_fma_f64 v[28:29], v[126:127], s[4:5], v[28:29]
	v_fma_f64 v[40:41], v[130:131], s[0:1], v[70:71]
	;; [unrolled: 1-line block ×4, first 2 shown]
	v_add_f64 v[48:49], v[4:5], v[124:125]
	v_fma_f64 v[4:5], v[58:59], -0.5, v[102:103]
	v_add_f64 v[58:59], v[106:107], v[102:103]
	v_fma_f64 v[86:87], v[86:87], -0.5, v[34:35]
	v_add_f64 v[120:121], v[60:61], -v[52:53]
	v_fma_f64 v[28:29], v[54:55], s[0:1], v[28:29]
	v_fma_f64 v[54:55], v[16:17], s[0:1], v[62:63]
	;; [unrolled: 1-line block ×3, first 2 shown]
	v_add_f64 v[70:71], v[106:107], -v[60:61]
	v_add_f64 v[88:89], v[128:129], -v[52:53]
	v_fma_f64 v[90:91], v[74:75], s[10:11], v[4:5]
	v_fma_f64 v[4:5], v[74:75], s[6:7], v[4:5]
	v_add_f64 v[58:59], v[60:61], v[58:59]
	v_add_f64 v[60:61], v[68:69], -v[84:85]
	v_add_f64 v[74:75], v[122:123], -v[114:115]
	;; [unrolled: 1-line block ×3, first 2 shown]
	v_fma_f64 v[104:105], v[120:121], s[10:11], v[86:87]
	v_add_f64 v[70:71], v[70:71], v[88:89]
	v_fma_f64 v[88:89], v[66:67], s[2:3], v[90:91]
	v_add_f64 v[90:91], v[68:69], v[122:123]
	v_fma_f64 v[4:5], v[66:67], s[4:5], v[4:5]
	v_add_f64 v[106:107], v[114:115], -v[122:123]
	v_add_f64 v[60:61], v[60:61], v[74:75]
	v_add_f64 v[52:53], v[52:53], v[58:59]
	v_fma_f64 v[74:75], v[102:103], s[4:5], v[104:105]
	v_add_f64 v[104:105], v[84:85], -v[68:69]
	v_fma_f64 v[58:59], v[70:71], s[0:1], v[88:89]
	v_add_u32_e32 v88, 0x2800, v175
	v_fma_f64 v[110:111], v[90:91], -0.5, v[34:35]
	ds_read2_b64 v[88:91], v88 offset0:160 offset1:250
	v_fma_f64 v[86:87], v[120:121], s[6:7], v[86:87]
	v_fma_f64 v[66:67], v[70:71], s[0:1], v[4:5]
	v_add_f64 v[34:35], v[34:35], v[84:85]
	v_add_f64 v[4:5], v[104:105], v[106:107]
	s_waitcnt vmcnt(3)
	v_mul_f64 v[106:107], v[26:27], v[81:82]
	s_waitcnt lgkmcnt(0)
	v_mul_f64 v[81:82], v[90:91], v[81:82]
	v_add_f64 v[70:71], v[128:129], v[52:53]
	v_fma_f64 v[52:53], v[60:61], s[0:1], v[74:75]
	v_fma_f64 v[86:87], v[102:103], s[2:3], v[86:87]
	s_waitcnt vmcnt(2)
	v_mul_f64 v[74:75], v[64:65], v[94:95]
	s_waitcnt vmcnt(1)
	v_mul_f64 v[104:105], v[22:23], v[98:99]
	;; [unrolled: 2-line block ×3, first 2 shown]
	v_mul_f64 v[94:95], v[108:109], v[94:95]
	v_fma_f64 v[134:135], v[26:27], v[79:80], v[81:82]
	v_lshlrev_b32_e32 v82, 2, v181
	v_add_f64 v[34:35], v[68:69], v[34:35]
	v_lshlrev_b64 v[68:69], 4, v[82:83]
	v_fma_f64 v[36:37], v[130:131], s[0:1], v[138:139]
	v_add_u32_e32 v84, 0x1000, v175
	v_fma_f64 v[130:131], v[79:80], v[90:91], -v[106:107]
	v_add_co_u32_e32 v79, vcc, s8, v68
	v_fma_f64 v[60:61], v[60:61], s[0:1], v[86:87]
	ds_read2_b64 v[84:87], v84 offset0:28 offset1:118
	v_addc_co_u32_e32 v80, vcc, v78, v69, vcc
	v_add_co_u32_e32 v68, vcc, s15, v79
	v_addc_co_u32_e32 v69, vcc, 0, v80, vcc
	v_add_co_u32_e32 v79, vcc, s9, v79
	v_addc_co_u32_e32 v80, vcc, 0, v80, vcc
	v_fma_f64 v[62:63], v[16:17], s[0:1], v[62:63]
	v_fma_f64 v[16:17], v[102:103], s[6:7], v[110:111]
	;; [unrolled: 1-line block ×3, first 2 shown]
	v_fma_f64 v[74:75], v[92:93], v[108:109], -v[74:75]
	s_waitcnt lgkmcnt(0)
	v_fma_f64 v[128:129], v[96:97], v[86:87], -v[104:105]
	v_fma_f64 v[124:125], v[116:117], v[112:113], -v[124:125]
	v_fma_f64 v[132:133], v[64:65], v[92:93], v[94:95]
	v_mul_f64 v[64:65], v[112:113], v[118:119]
	global_load_dwordx4 v[90:93], v[79:80], off offset:2944
	global_load_dwordx4 v[102:105], v[68:69], off offset:32
	global_load_dwordx4 v[106:109], v[68:69], off offset:16
	global_load_dwordx4 v[110:113], v[68:69], off offset:48
	v_mul_f64 v[26:27], v[86:87], v[98:99]
	v_fma_f64 v[16:17], v[120:121], s[4:5], v[16:17]
	v_fma_f64 v[79:80], v[120:121], s[2:3], v[126:127]
	v_add_f64 v[138:139], v[74:75], -v[130:131]
	v_add_f64 v[68:69], v[128:129], v[124:125]
	v_add_f64 v[98:99], v[124:125], -v[130:131]
	v_fma_f64 v[136:137], v[56:57], v[116:117], v[64:65]
	v_fma_f64 v[86:87], v[22:23], v[96:97], v[26:27]
	v_add_f64 v[22:23], v[74:75], v[130:131]
	v_add_f64 v[26:27], v[34:35], v[122:123]
	v_add_f64 v[34:35], v[132:133], -v[134:135]
	v_fma_f64 v[81:82], v[68:69], -0.5, v[100:101]
	v_fma_f64 v[56:57], v[4:5], s[0:1], v[16:17]
	v_fma_f64 v[64:65], v[4:5], s[0:1], v[79:80]
	v_add_f64 v[4:5], v[74:75], -v[128:129]
	v_add_f64 v[16:17], v[86:87], -v[136:137]
	v_fma_f64 v[22:23], v[22:23], -0.5, v[100:101]
	v_add_f64 v[94:95], v[86:87], v[136:137]
	v_add_f64 v[79:80], v[130:131], -v[124:125]
	v_add_f64 v[68:69], v[26:27], v[114:115]
	v_fma_f64 v[26:27], v[34:35], s[6:7], v[81:82]
	v_add_f64 v[96:97], v[128:129], -v[74:75]
	v_fma_f64 v[81:82], v[34:35], s[10:11], v[81:82]
	v_add_f64 v[122:123], v[128:129], -v[124:125]
	v_fma_f64 v[114:115], v[16:17], s[10:11], v[22:23]
	v_fma_f64 v[94:95], v[94:95], -0.5, v[32:33]
	v_add_f64 v[4:5], v[4:5], v[79:80]
	v_add_f64 v[79:80], v[128:129], v[100:101]
	v_fma_f64 v[26:27], v[16:17], s[2:3], v[26:27]
	v_add_f64 v[116:117], v[96:97], v[98:99]
	v_fma_f64 v[98:99], v[16:17], s[6:7], v[22:23]
	v_fma_f64 v[100:101], v[16:17], s[4:5], v[81:82]
	;; [unrolled: 1-line block ×3, first 2 shown]
	v_lshlrev_b32_e32 v82, 2, v174
	v_fma_f64 v[120:121], v[138:139], s[10:11], v[94:95]
	v_fma_f64 v[128:129], v[138:139], s[6:7], v[94:95]
	v_lshlrev_b64 v[94:95], 4, v[82:83]
	v_add_f64 v[74:75], v[74:75], v[79:80]
	v_add_co_u32_e32 v82, vcc, s8, v94
	v_fma_f64 v[80:81], v[4:5], s[0:1], v[26:27]
	v_fma_f64 v[26:27], v[34:35], s[4:5], v[98:99]
	v_addc_co_u32_e32 v98, vcc, v78, v95, vcc
	v_add_co_u32_e32 v78, vcc, s9, v82
	v_addc_co_u32_e32 v79, vcc, 0, v98, vcc
	v_fma_f64 v[16:17], v[116:117], s[0:1], v[96:97]
	global_load_dwordx4 v[94:97], v[78:79], off offset:2944
	v_add_co_u32_e32 v78, vcc, s15, v82
	v_addc_co_u32_e32 v79, vcc, 0, v98, vcc
	v_add_f64 v[114:115], v[132:133], -v[86:87]
	v_add_f64 v[118:119], v[134:135], -v[136:137]
	v_fma_f64 v[22:23], v[4:5], s[0:1], v[100:101]
	global_load_dwordx4 v[98:101], v[78:79], off offset:48
	v_add_f64 v[4:5], v[132:133], v[134:135]
	v_add_f64 v[34:35], v[130:131], v[74:75]
	v_fma_f64 v[126:127], v[122:123], s[4:5], v[120:121]
	v_fma_f64 v[26:27], v[116:117], s[0:1], v[26:27]
	v_add_f64 v[130:131], v[86:87], -v[132:133]
	v_add_f64 v[74:75], v[114:115], v[118:119]
	global_load_dwordx4 v[114:117], v[78:79], off offset:32
	global_load_dwordx4 v[118:121], v[78:79], off offset:16
	v_add_f64 v[140:141], v[136:137], -v[134:135]
	v_fma_f64 v[4:5], v[4:5], -0.5, v[32:33]
	v_add_f64 v[32:33], v[32:33], v[86:87]
	v_add_u32_e32 v82, 0x1800, v175
	v_add_f64 v[34:35], v[124:125], v[34:35]
	v_fma_f64 v[144:145], v[122:123], s[2:3], v[128:129]
	v_fma_f64 v[78:79], v[74:75], s[0:1], v[126:127]
	v_add_f64 v[130:131], v[130:131], v[140:141]
	v_fma_f64 v[142:143], v[122:123], s[6:7], v[4:5]
	v_fma_f64 v[4:5], v[122:123], s[10:11], v[4:5]
	s_waitcnt vmcnt(7)
	v_mul_f64 v[86:87], v[20:21], v[92:93]
	s_waitcnt vmcnt(6)
	v_mul_f64 v[148:149], v[24:25], v[104:105]
	;; [unrolled: 2-line block ×3, first 2 shown]
	ds_read2_b64 v[122:125], v82 offset0:132 offset1:222
	v_add_u32_e32 v82, 0x3800, v175
	ds_read2_b64 v[126:129], v82 offset0:8 offset1:98
	v_fma_f64 v[140:141], v[138:139], s[4:5], v[142:143]
	v_mul_f64 v[142:143], v[14:15], v[108:109]
	v_fma_f64 v[4:5], v[138:139], s[2:3], v[4:5]
	v_fma_f64 v[138:139], v[90:91], v[84:85], -v[86:87]
	s_waitcnt lgkmcnt(1)
	v_mul_f64 v[86:87], v[124:125], v[108:109]
	v_mul_f64 v[104:105], v[88:89], v[104:105]
	s_waitcnt lgkmcnt(0)
	v_fma_f64 v[108:109], v[110:111], v[128:129], -v[146:147]
	v_fma_f64 v[88:89], v[102:103], v[88:89], -v[148:149]
	v_mul_f64 v[92:93], v[84:85], v[92:93]
	v_fma_f64 v[124:125], v[106:107], v[124:125], -v[142:143]
	v_mul_f64 v[112:113], v[128:129], v[112:113]
	v_add_f64 v[32:33], v[132:133], v[32:33]
	v_fma_f64 v[106:107], v[14:15], v[106:107], v[86:87]
	v_fma_f64 v[102:103], v[24:25], v[102:103], v[104:105]
	v_add_f64 v[14:15], v[138:139], v[108:109]
	v_add_f64 v[128:129], v[88:89], -v[108:109]
	v_fma_f64 v[90:91], v[20:21], v[90:91], v[92:93]
	v_add_f64 v[104:105], v[124:125], -v[138:139]
	v_fma_f64 v[110:111], v[10:11], v[110:111], v[112:113]
	v_add_f64 v[10:11], v[124:125], v[88:89]
	ds_read2_b64 v[84:87], v175 offset1:90
	v_add_f64 v[92:93], v[106:107], -v[102:103]
	v_fma_f64 v[20:21], v[74:75], s[0:1], v[144:145]
	v_fma_f64 v[24:25], v[130:131], s[0:1], v[4:5]
	v_add_f64 v[4:5], v[32:33], v[134:135]
	s_waitcnt lgkmcnt(0)
	v_fma_f64 v[112:113], v[14:15], -0.5, v[86:87]
	v_add_f64 v[32:33], v[90:91], -v[110:111]
	v_fma_f64 v[10:11], v[10:11], -0.5, v[86:87]
	v_add_f64 v[74:75], v[104:105], v[128:129]
	v_add_f64 v[128:129], v[90:91], v[110:111]
	;; [unrolled: 1-line block ×3, first 2 shown]
	v_fma_f64 v[14:15], v[130:131], s[0:1], v[140:141]
	v_add_f64 v[130:131], v[138:139], -v[124:125]
	v_fma_f64 v[104:105], v[92:93], s[6:7], v[112:113]
	v_fma_f64 v[112:113], v[92:93], s[10:11], v[112:113]
	v_add_f64 v[132:133], v[108:109], -v[88:89]
	v_fma_f64 v[134:135], v[32:33], s[10:11], v[10:11]
	v_fma_f64 v[10:11], v[32:33], s[6:7], v[10:11]
	v_fma_f64 v[128:129], v[128:129], -0.5, v[2:3]
	v_add_f64 v[140:141], v[124:125], -v[88:89]
	v_add_f64 v[86:87], v[124:125], v[86:87]
	v_fma_f64 v[104:105], v[32:33], s[2:3], v[104:105]
	v_fma_f64 v[112:113], v[32:33], s[4:5], v[112:113]
	v_add_f64 v[130:131], v[130:131], v[132:133]
	v_fma_f64 v[124:125], v[92:93], s[2:3], v[134:135]
	v_fma_f64 v[92:93], v[92:93], s[4:5], v[10:11]
	v_add_f64 v[132:133], v[106:107], -v[90:91]
	v_add_f64 v[134:135], v[102:103], -v[110:111]
	v_add_f64 v[138:139], v[138:139], -v[108:109]
	v_fma_f64 v[142:143], v[140:141], s[10:11], v[128:129]
	v_add_f64 v[86:87], v[88:89], v[86:87]
	v_add_f64 v[32:33], v[4:5], v[136:137]
	v_fma_f64 v[88:89], v[74:75], s[0:1], v[104:105]
	v_fma_f64 v[4:5], v[74:75], s[0:1], v[112:113]
	;; [unrolled: 1-line block ×4, first 2 shown]
	v_add_f64 v[104:105], v[132:133], v[134:135]
	v_fma_f64 v[112:113], v[138:139], s[4:5], v[142:143]
	s_waitcnt vmcnt(3)
	v_mul_f64 v[124:125], v[6:7], v[96:97]
	v_add_f64 v[92:93], v[108:109], v[86:87]
	v_fma_f64 v[108:109], v[140:141], s[6:7], v[128:129]
	s_waitcnt vmcnt(2)
	v_mul_f64 v[128:129], v[8:9], v[100:101]
	v_add_f64 v[130:131], v[90:91], -v[106:107]
	v_add_f64 v[132:133], v[110:111], -v[102:103]
	v_add_f64 v[134:135], v[106:107], v[102:103]
	v_fma_f64 v[86:87], v[104:105], s[0:1], v[112:113]
	v_fma_f64 v[112:113], v[94:95], v[76:77], -v[124:125]
	s_waitcnt vmcnt(0)
	v_mul_f64 v[124:125], v[122:123], v[120:121]
	v_mul_f64 v[136:137], v[72:73], v[116:117]
	v_fma_f64 v[128:129], v[98:99], v[126:127], -v[128:129]
	v_mul_f64 v[120:121], v[12:13], v[120:121]
	v_add_f64 v[130:131], v[130:131], v[132:133]
	v_fma_f64 v[132:133], v[134:135], -0.5, v[2:3]
	v_mul_f64 v[116:117], v[18:19], v[116:117]
	v_mul_f64 v[76:77], v[76:77], v[96:97]
	v_fma_f64 v[12:13], v[12:13], v[118:119], v[124:125]
	v_fma_f64 v[18:19], v[18:19], v[114:115], v[136:137]
	v_add_f64 v[124:125], v[112:113], v[128:129]
	v_mul_f64 v[96:97], v[126:127], v[100:101]
	v_add_f64 v[2:3], v[2:3], v[90:91]
	v_fma_f64 v[100:101], v[138:139], s[6:7], v[132:133]
	v_fma_f64 v[118:119], v[118:119], v[122:123], -v[120:121]
	v_fma_f64 v[114:115], v[114:115], v[72:73], -v[116:117]
	v_fma_f64 v[6:7], v[6:7], v[94:95], v[76:77]
	v_add_f64 v[116:117], v[12:13], -v[18:19]
	v_fma_f64 v[72:73], v[124:125], -0.5, v[84:85]
	v_fma_f64 v[76:77], v[8:9], v[98:99], v[96:97]
	v_add_f64 v[2:3], v[106:107], v[2:3]
	v_fma_f64 v[90:91], v[140:141], s[4:5], v[100:101]
	v_add_f64 v[94:95], v[118:119], -v[112:113]
	v_add_f64 v[96:97], v[114:115], -v[128:129]
	v_add_f64 v[98:99], v[118:119], v[114:115]
	v_fma_f64 v[108:109], v[138:139], s[2:3], v[108:109]
	v_fma_f64 v[100:101], v[116:117], s[6:7], v[72:73]
	v_add_f64 v[106:107], v[6:7], -v[76:77]
	v_fma_f64 v[122:123], v[116:117], s[10:11], v[72:73]
	v_fma_f64 v[8:9], v[138:139], s[10:11], v[132:133]
	v_add_f64 v[102:103], v[2:3], v[102:103]
	v_add_f64 v[94:95], v[94:95], v[96:97]
	v_fma_f64 v[98:99], v[98:99], -0.5, v[84:85]
	v_fma_f64 v[2:3], v[104:105], s[0:1], v[108:109]
	v_add_f64 v[104:105], v[128:129], -v[114:115]
	v_fma_f64 v[96:97], v[106:107], s[2:3], v[100:101]
	v_fma_f64 v[100:101], v[106:107], s[4:5], v[122:123]
	;; [unrolled: 1-line block ×4, first 2 shown]
	v_add_f64 v[90:91], v[102:103], v[110:111]
	v_add_f64 v[102:103], v[112:113], -v[118:119]
	v_fma_f64 v[108:109], v[106:107], s[10:11], v[98:99]
	v_add_f64 v[110:111], v[6:7], v[76:77]
	v_fma_f64 v[96:97], v[94:95], s[0:1], v[96:97]
	v_fma_f64 v[100:101], v[94:95], s[0:1], v[100:101]
	v_add_f64 v[94:95], v[12:13], v[18:19]
	v_fma_f64 v[98:99], v[106:107], s[6:7], v[98:99]
	v_add_f64 v[84:85], v[112:113], v[84:85]
	v_add_f64 v[102:103], v[102:103], v[104:105]
	v_fma_f64 v[104:105], v[116:117], s[2:3], v[108:109]
	v_fma_f64 v[106:107], v[110:111], -0.5, v[0:1]
	v_add_f64 v[108:109], v[118:119], -v[114:115]
	v_add_f64 v[110:111], v[112:113], -v[128:129]
	v_fma_f64 v[94:95], v[94:95], -0.5, v[0:1]
	v_add_f64 v[0:1], v[0:1], v[6:7]
	v_fma_f64 v[72:73], v[130:131], s[0:1], v[120:121]
	v_fma_f64 v[98:99], v[116:117], s[4:5], v[98:99]
	v_add_f64 v[84:85], v[118:119], v[84:85]
	v_add_f64 v[112:113], v[12:13], -v[6:7]
	v_add_f64 v[116:117], v[18:19], -v[76:77]
	v_fma_f64 v[118:119], v[108:109], s[10:11], v[106:107]
	v_fma_f64 v[106:107], v[108:109], s[6:7], v[106:107]
	v_add_f64 v[6:7], v[6:7], -v[12:13]
	v_add_f64 v[120:121], v[76:77], -v[18:19]
	v_fma_f64 v[122:123], v[110:111], s[6:7], v[94:95]
	v_fma_f64 v[94:95], v[110:111], s[10:11], v[94:95]
	v_add_f64 v[0:1], v[12:13], v[0:1]
	v_add_f64 v[12:13], v[114:115], v[84:85]
	;; [unrolled: 1-line block ×3, first 2 shown]
	v_fma_f64 v[106:107], v[110:111], s[2:3], v[106:107]
	v_fma_f64 v[114:115], v[110:111], s[4:5], v[118:119]
	v_add_f64 v[6:7], v[6:7], v[120:121]
	v_fma_f64 v[110:111], v[108:109], s[4:5], v[122:123]
	v_fma_f64 v[116:117], v[108:109], s[2:3], v[94:95]
	v_add_f64 v[0:1], v[0:1], v[18:19]
	v_fma_f64 v[108:109], v[102:103], s[0:1], v[98:99]
	v_fma_f64 v[104:105], v[102:103], s[0:1], v[104:105]
	;; [unrolled: 1-line block ×4, first 2 shown]
	v_mov_b32_e32 v175, v83
	v_fma_f64 v[102:103], v[6:7], s[0:1], v[110:111]
	v_fma_f64 v[106:107], v[6:7], s[0:1], v[116:117]
	v_add_f64 v[110:111], v[0:1], v[76:77]
	v_mov_b32_e32 v0, s13
	v_add_co_u32_e32 v84, vcc, s12, v176
	v_addc_co_u32_e32 v85, vcc, v0, v177, vcc
	v_lshlrev_b64 v[0:1], 4, v[174:175]
	v_add_f64 v[112:113], v[128:129], v[12:13]
	v_add_co_u32_e32 v0, vcc, v84, v0
	v_addc_co_u32_e32 v1, vcc, v85, v1, vcc
	v_add_co_u32_e32 v6, vcc, s9, v0
	v_addc_co_u32_e32 v7, vcc, 0, v1, vcc
	global_store_dwordx4 v[6:7], v[106:109], off offset:3104
	v_add_co_u32_e32 v6, vcc, s14, v0
	v_addc_co_u32_e32 v7, vcc, 0, v1, vcc
	s_movk_i32 s0, 0x5000
	v_add_co_u32_e32 v12, vcc, s0, v0
	v_addc_co_u32_e32 v13, vcc, 0, v1, vcc
	s_movk_i32 s1, 0x7000
	v_add_co_u32_e32 v18, vcc, s1, v0
	v_addc_co_u32_e32 v19, vcc, 0, v1, vcc
	v_add_co_u32_e32 v76, vcc, s16, v0
	v_addc_co_u32_e32 v77, vcc, 0, v1, vcc
	s_mov_b32 s2, 0x91a2b3c5
	global_store_dwordx4 v[0:1], v[110:113], off
	global_store_dwordx4 v[6:7], v[98:101], off offset:2112
	global_store_dwordx4 v[12:13], v[94:97], off offset:1120
	;; [unrolled: 1-line block ×8, first 2 shown]
	v_mul_hi_u32 v72, v178, s2
	s_movk_i32 s4, 0x4000
	s_movk_i32 s3, 0x708
	v_lshrrev_b32_e32 v2, 8, v72
	v_mul_u32_u24_e32 v82, 0x708, v2
	v_lshlrev_b64 v[2:3], 4, v[82:83]
	v_add_co_u32_e32 v0, vcc, v0, v2
	v_addc_co_u32_e32 v1, vcc, v1, v3, vcc
	v_add_co_u32_e32 v2, vcc, s16, v0
	v_addc_co_u32_e32 v3, vcc, 0, v1, vcc
	global_store_dwordx4 v[2:3], v[24:27], off offset:1888
	v_add_co_u32_e32 v2, vcc, s4, v0
	v_addc_co_u32_e32 v3, vcc, 0, v1, vcc
	global_store_dwordx4 v[2:3], v[20:23], off offset:896
	;; [unrolled: 3-line block ×3, first 2 shown]
	v_mul_hi_u32 v2, v179, s2
	global_store_dwordx4 v[0:1], v[32:35], off offset:2880
	v_add_co_u32_e32 v0, vcc, s1, v0
	v_addc_co_u32_e32 v1, vcc, 0, v1, vcc
	global_store_dwordx4 v[0:1], v[14:17], off offset:3008
	v_lshrrev_b32_e32 v0, 8, v2
	v_mad_u32_u24 v82, v0, s3, v179
	v_lshlrev_b64 v[0:1], 4, v[82:83]
	v_add_co_u32_e32 v0, vcc, v84, v0
	v_addc_co_u32_e32 v1, vcc, v85, v1, vcc
	v_add_co_u32_e32 v2, vcc, s9, v0
	v_addc_co_u32_e32 v3, vcc, 0, v1, vcc
	global_store_dwordx4 v[2:3], v[64:67], off offset:3104
	v_add_co_u32_e32 v2, vcc, s14, v0
	v_addc_co_u32_e32 v3, vcc, 0, v1, vcc
	global_store_dwordx4 v[2:3], v[60:63], off offset:2112
	v_add_co_u32_e32 v2, vcc, s0, v0
	v_addc_co_u32_e32 v3, vcc, 0, v1, vcc
	global_store_dwordx4 v[2:3], v[52:55], off offset:1120
	v_mul_hi_u32 v2, v180, s2
	global_store_dwordx4 v[0:1], v[68:71], off
	v_add_co_u32_e32 v0, vcc, s1, v0
	v_addc_co_u32_e32 v1, vcc, 0, v1, vcc
	global_store_dwordx4 v[0:1], v[56:59], off offset:128
	v_lshrrev_b32_e32 v0, 8, v2
	v_mad_u32_u24 v82, v0, s3, v180
	v_lshlrev_b64 v[0:1], 4, v[82:83]
	v_add_co_u32_e32 v0, vcc, v84, v0
	v_addc_co_u32_e32 v1, vcc, v85, v1, vcc
	v_add_co_u32_e32 v2, vcc, s9, v0
	v_addc_co_u32_e32 v3, vcc, 0, v1, vcc
	global_store_dwordx4 v[2:3], v[44:47], off offset:3104
	v_add_co_u32_e32 v2, vcc, s14, v0
	v_addc_co_u32_e32 v3, vcc, 0, v1, vcc
	global_store_dwordx4 v[2:3], v[40:43], off offset:2112
	v_add_co_u32_e32 v2, vcc, 0x5000, v0
	v_addc_co_u32_e32 v3, vcc, 0, v1, vcc
	global_store_dwordx4 v[0:1], v[48:51], off
	v_add_co_u32_e32 v0, vcc, 0x7000, v0
	v_addc_co_u32_e32 v1, vcc, 0, v1, vcc
	global_store_dwordx4 v[2:3], v[36:39], off offset:1120
	global_store_dwordx4 v[0:1], v[28:31], off offset:128
.LBB0_35:
	s_endpgm
	.section	.rodata,"a",@progbits
	.p2align	6, 0x0
	.amdhsa_kernel fft_rtc_back_len2250_factors_10_3_5_3_5_wgs_90_tpt_90_halfLds_dp_ip_CI_unitstride_sbrr_dirReg
		.amdhsa_group_segment_fixed_size 0
		.amdhsa_private_segment_fixed_size 0
		.amdhsa_kernarg_size 88
		.amdhsa_user_sgpr_count 6
		.amdhsa_user_sgpr_private_segment_buffer 1
		.amdhsa_user_sgpr_dispatch_ptr 0
		.amdhsa_user_sgpr_queue_ptr 0
		.amdhsa_user_sgpr_kernarg_segment_ptr 1
		.amdhsa_user_sgpr_dispatch_id 0
		.amdhsa_user_sgpr_flat_scratch_init 0
		.amdhsa_user_sgpr_private_segment_size 0
		.amdhsa_uses_dynamic_stack 0
		.amdhsa_system_sgpr_private_segment_wavefront_offset 0
		.amdhsa_system_sgpr_workgroup_id_x 1
		.amdhsa_system_sgpr_workgroup_id_y 0
		.amdhsa_system_sgpr_workgroup_id_z 0
		.amdhsa_system_sgpr_workgroup_info 0
		.amdhsa_system_vgpr_workitem_id 0
		.amdhsa_next_free_vgpr 254
		.amdhsa_next_free_sgpr 22
		.amdhsa_reserve_vcc 1
		.amdhsa_reserve_flat_scratch 0
		.amdhsa_float_round_mode_32 0
		.amdhsa_float_round_mode_16_64 0
		.amdhsa_float_denorm_mode_32 3
		.amdhsa_float_denorm_mode_16_64 3
		.amdhsa_dx10_clamp 1
		.amdhsa_ieee_mode 1
		.amdhsa_fp16_overflow 0
		.amdhsa_exception_fp_ieee_invalid_op 0
		.amdhsa_exception_fp_denorm_src 0
		.amdhsa_exception_fp_ieee_div_zero 0
		.amdhsa_exception_fp_ieee_overflow 0
		.amdhsa_exception_fp_ieee_underflow 0
		.amdhsa_exception_fp_ieee_inexact 0
		.amdhsa_exception_int_div_zero 0
	.end_amdhsa_kernel
	.text
.Lfunc_end0:
	.size	fft_rtc_back_len2250_factors_10_3_5_3_5_wgs_90_tpt_90_halfLds_dp_ip_CI_unitstride_sbrr_dirReg, .Lfunc_end0-fft_rtc_back_len2250_factors_10_3_5_3_5_wgs_90_tpt_90_halfLds_dp_ip_CI_unitstride_sbrr_dirReg
                                        ; -- End function
	.section	.AMDGPU.csdata,"",@progbits
; Kernel info:
; codeLenInByte = 20008
; NumSgprs: 26
; NumVgprs: 254
; ScratchSize: 0
; MemoryBound: 1
; FloatMode: 240
; IeeeMode: 1
; LDSByteSize: 0 bytes/workgroup (compile time only)
; SGPRBlocks: 3
; VGPRBlocks: 63
; NumSGPRsForWavesPerEU: 26
; NumVGPRsForWavesPerEU: 254
; Occupancy: 1
; WaveLimiterHint : 1
; COMPUTE_PGM_RSRC2:SCRATCH_EN: 0
; COMPUTE_PGM_RSRC2:USER_SGPR: 6
; COMPUTE_PGM_RSRC2:TRAP_HANDLER: 0
; COMPUTE_PGM_RSRC2:TGID_X_EN: 1
; COMPUTE_PGM_RSRC2:TGID_Y_EN: 0
; COMPUTE_PGM_RSRC2:TGID_Z_EN: 0
; COMPUTE_PGM_RSRC2:TIDIG_COMP_CNT: 0
	.type	__hip_cuid_2b262060312ad61c,@object ; @__hip_cuid_2b262060312ad61c
	.section	.bss,"aw",@nobits
	.globl	__hip_cuid_2b262060312ad61c
__hip_cuid_2b262060312ad61c:
	.byte	0                               ; 0x0
	.size	__hip_cuid_2b262060312ad61c, 1

	.ident	"AMD clang version 19.0.0git (https://github.com/RadeonOpenCompute/llvm-project roc-6.4.0 25133 c7fe45cf4b819c5991fe208aaa96edf142730f1d)"
	.section	".note.GNU-stack","",@progbits
	.addrsig
	.addrsig_sym __hip_cuid_2b262060312ad61c
	.amdgpu_metadata
---
amdhsa.kernels:
  - .args:
      - .actual_access:  read_only
        .address_space:  global
        .offset:         0
        .size:           8
        .value_kind:     global_buffer
      - .offset:         8
        .size:           8
        .value_kind:     by_value
      - .actual_access:  read_only
        .address_space:  global
        .offset:         16
        .size:           8
        .value_kind:     global_buffer
      - .actual_access:  read_only
        .address_space:  global
        .offset:         24
        .size:           8
        .value_kind:     global_buffer
      - .offset:         32
        .size:           8
        .value_kind:     by_value
      - .actual_access:  read_only
        .address_space:  global
        .offset:         40
        .size:           8
        .value_kind:     global_buffer
      - .actual_access:  read_only
        .address_space:  global
        .offset:         48
        .size:           8
        .value_kind:     global_buffer
      - .offset:         56
        .size:           4
        .value_kind:     by_value
      - .actual_access:  read_only
        .address_space:  global
        .offset:         64
        .size:           8
        .value_kind:     global_buffer
      - .actual_access:  read_only
        .address_space:  global
        .offset:         72
        .size:           8
        .value_kind:     global_buffer
      - .address_space:  global
        .offset:         80
        .size:           8
        .value_kind:     global_buffer
    .group_segment_fixed_size: 0
    .kernarg_segment_align: 8
    .kernarg_segment_size: 88
    .language:       OpenCL C
    .language_version:
      - 2
      - 0
    .max_flat_workgroup_size: 90
    .name:           fft_rtc_back_len2250_factors_10_3_5_3_5_wgs_90_tpt_90_halfLds_dp_ip_CI_unitstride_sbrr_dirReg
    .private_segment_fixed_size: 0
    .sgpr_count:     26
    .sgpr_spill_count: 0
    .symbol:         fft_rtc_back_len2250_factors_10_3_5_3_5_wgs_90_tpt_90_halfLds_dp_ip_CI_unitstride_sbrr_dirReg.kd
    .uniform_work_group_size: 1
    .uses_dynamic_stack: false
    .vgpr_count:     254
    .vgpr_spill_count: 0
    .wavefront_size: 64
amdhsa.target:   amdgcn-amd-amdhsa--gfx906
amdhsa.version:
  - 1
  - 2
...

	.end_amdgpu_metadata
